;; amdgpu-corpus repo=ROCm/rocFFT kind=compiled arch=gfx1100 opt=O3
	.text
	.amdgcn_target "amdgcn-amd-amdhsa--gfx1100"
	.amdhsa_code_object_version 6
	.protected	bluestein_single_fwd_len784_dim1_sp_op_CI_CI ; -- Begin function bluestein_single_fwd_len784_dim1_sp_op_CI_CI
	.globl	bluestein_single_fwd_len784_dim1_sp_op_CI_CI
	.p2align	8
	.type	bluestein_single_fwd_len784_dim1_sp_op_CI_CI,@function
bluestein_single_fwd_len784_dim1_sp_op_CI_CI: ; @bluestein_single_fwd_len784_dim1_sp_op_CI_CI
; %bb.0:
	s_load_b128 s[16:19], s[0:1], 0x28
	v_mul_u32_u24_e32 v1, 0x493, v0
	s_mov_b32 s2, exec_lo
	v_mov_b32_e32 v85, 0
	s_delay_alu instid0(VALU_DEP_2) | instskip(NEXT) | instid1(VALU_DEP_1)
	v_lshrrev_b32_e32 v1, 16, v1
	v_add_nc_u32_e32 v84, s15, v1
	s_waitcnt lgkmcnt(0)
	s_delay_alu instid0(VALU_DEP_1)
	v_cmpx_gt_u64_e64 s[16:17], v[84:85]
	s_cbranch_execz .LBB0_2
; %bb.1:
	s_clause 0x1
	s_load_b128 s[4:7], s[0:1], 0x18
	s_load_b128 s[8:11], s[0:1], 0x0
	v_mul_lo_u16 v1, v1, 56
	s_load_b64 s[0:1], s[0:1], 0x38
	s_delay_alu instid0(VALU_DEP_1) | instskip(NEXT) | instid1(VALU_DEP_1)
	v_sub_nc_u16 v0, v0, v1
	v_and_b32_e32 v96, 0xffff, v0
	s_waitcnt lgkmcnt(0)
	s_load_b128 s[12:15], s[4:5], 0x0
	s_waitcnt lgkmcnt(0)
	v_mad_u64_u32 v[0:1], null, s14, v84, 0
	v_mad_u64_u32 v[2:3], null, s12, v96, 0
	s_mul_i32 s3, s13, 0xc40
	s_mul_hi_u32 s4, s12, 0xc40
	s_mul_i32 s2, s12, 0xc40
	s_add_i32 s3, s4, s3
	s_mul_hi_u32 s14, s12, 0xfffff580
	s_mul_i32 s5, s13, 0xfffff580
	s_delay_alu instid0(VALU_DEP_1) | instskip(SKIP_2) | instid1(SALU_CYCLE_1)
	v_mad_u64_u32 v[4:5], null, s15, v84, v[1:2]
	s_mul_i32 s15, s12, 0xfffff580
	s_sub_i32 s4, s14, s12
	s_add_i32 s4, s4, s5
	s_delay_alu instid0(VALU_DEP_1) | instskip(SKIP_3) | instid1(VALU_DEP_4)
	v_mov_b32_e32 v1, v4
	v_mad_u64_u32 v[5:6], null, s13, v96, v[3:4]
	v_lshlrev_b32_e32 v92, 3, v96
	v_or_b32_e32 v91, 0x1c0, v96
	v_lshlrev_b64 v[0:1], 3, v[0:1]
	v_mad_u64_u32 v[122:123], null, v96, 48, s[10:11]
	v_and_b32_e32 v43, 1, v96
	v_mov_b32_e32 v3, v5
	v_mad_u64_u32 v[4:5], null, s12, v91, 0
	v_add_co_u32 v12, vcc_lo, s18, v0
	s_delay_alu instid0(VALU_DEP_3) | instskip(SKIP_2) | instid1(VALU_DEP_1)
	v_lshlrev_b64 v[2:3], 3, v[2:3]
	v_add_co_ci_u32_e32 v13, vcc_lo, s19, v1, vcc_lo
	v_add_co_u32 v53, s5, s8, v92
	v_add_co_ci_u32_e64 v90, null, s9, 0, s5
	s_delay_alu instid0(VALU_DEP_4) | instskip(NEXT) | instid1(VALU_DEP_4)
	v_add_co_u32 v0, vcc_lo, v12, v2
	v_add_co_ci_u32_e32 v1, vcc_lo, v13, v3, vcc_lo
	v_mov_b32_e32 v2, v5
	s_delay_alu instid0(VALU_DEP_3) | instskip(NEXT) | instid1(VALU_DEP_3)
	v_add_co_u32 v6, vcc_lo, v0, s2
	v_add_co_ci_u32_e32 v7, vcc_lo, s3, v1, vcc_lo
	s_delay_alu instid0(VALU_DEP_3) | instskip(NEXT) | instid1(VALU_DEP_3)
	v_mad_u64_u32 v[8:9], null, s13, v91, v[2:3]
	v_add_co_u32 v2, vcc_lo, v6, s15
	s_delay_alu instid0(VALU_DEP_3) | instskip(SKIP_1) | instid1(VALU_DEP_4)
	v_add_co_ci_u32_e32 v3, vcc_lo, s4, v7, vcc_lo
	v_add_co_u32 v50, vcc_lo, 0x1000, v53
	v_mov_b32_e32 v5, v8
	s_delay_alu instid0(VALU_DEP_3) | instskip(SKIP_1) | instid1(VALU_DEP_3)
	v_mad_u64_u32 v[8:9], null, 0x1c0, s12, v[2:3]
	v_add_co_ci_u32_e32 v51, vcc_lo, 0, v90, vcc_lo
	v_lshlrev_b64 v[4:5], 3, v[4:5]
	v_add_nc_u32_e32 v94, 0x400, v92
	s_clause 0x2
	global_load_b64 v[56:57], v92, s[8:9] offset:3136
	global_load_b64 v[58:59], v92, s[8:9] offset:3584
	global_load_b64 v[60:61], v92, s[8:9] offset:4032
	v_mad_u64_u32 v[10:11], null, 0x1c0, s13, v[9:10]
	v_add_co_u32 v4, vcc_lo, v12, v4
	v_add_co_ci_u32_e32 v5, vcc_lo, v13, v5, vcc_lo
	s_clause 0x5
	global_load_b64 v[66:67], v92, s[8:9]
	global_load_b64 v[64:65], v92, s[8:9] offset:448
	global_load_b64 v[62:63], v92, s[8:9] offset:896
	;; [unrolled: 1-line block ×5, first 2 shown]
	v_mov_b32_e32 v9, v10
	v_add_co_u32 v10, vcc_lo, v8, s2
	s_clause 0x2
	global_load_b64 v[76:77], v[50:51], off offset:384
	global_load_b64 v[74:75], v[50:51], off offset:832
	;; [unrolled: 1-line block ×3, first 2 shown]
	s_clause 0x2
	global_load_b64 v[0:1], v[0:1], off
	global_load_b64 v[6:7], v[6:7], off
	global_load_b64 v[4:5], v[4:5], off
	v_add_co_ci_u32_e32 v11, vcc_lo, s3, v9, vcc_lo
	global_load_b64 v[8:9], v[8:9], off
	v_add_co_u32 v12, vcc_lo, v10, s15
	v_add_co_ci_u32_e32 v13, vcc_lo, s4, v11, vcc_lo
	s_clause 0x1
	global_load_b64 v[10:11], v[10:11], off
	global_load_b64 v[2:3], v[2:3], off
	v_add_co_u32 v14, vcc_lo, v12, s2
	v_add_co_ci_u32_e32 v15, vcc_lo, s3, v13, vcc_lo
	global_load_b64 v[12:13], v[12:13], off
	v_add_co_u32 v16, vcc_lo, v14, s15
	v_add_co_ci_u32_e32 v17, vcc_lo, s4, v15, vcc_lo
	global_load_b64 v[14:15], v[14:15], off
	v_add_co_u32 v18, vcc_lo, v16, s2
	v_add_co_ci_u32_e32 v19, vcc_lo, s3, v17, vcc_lo
	global_load_b64 v[16:17], v[16:17], off
	v_add_co_u32 v20, vcc_lo, v18, s15
	v_add_co_ci_u32_e32 v21, vcc_lo, s4, v19, vcc_lo
	global_load_b64 v[18:19], v[18:19], off
	v_add_co_u32 v22, vcc_lo, v20, s2
	v_add_co_ci_u32_e32 v23, vcc_lo, s3, v21, vcc_lo
	global_load_b64 v[20:21], v[20:21], off
	v_add_co_u32 v24, vcc_lo, v22, s15
	v_add_co_ci_u32_e32 v25, vcc_lo, s4, v23, vcc_lo
	global_load_b64 v[22:23], v[22:23], off
	v_add_co_u32 v26, vcc_lo, v24, s2
	v_add_co_ci_u32_e32 v27, vcc_lo, s3, v25, vcc_lo
	global_load_b64 v[80:81], v92, s[8:9] offset:2688
	global_load_b64 v[24:25], v[24:25], off
	global_load_b64 v[82:83], v[50:51], off offset:1728
	global_load_b64 v[26:27], v[26:27], off
	v_add_nc_u32_e32 v93, 0x1000, v92
	v_add_nc_u32_e32 v95, 0x800, v92
	s_load_b128 s[4:7], s[6:7], 0x0
	v_lshlrev_b32_e32 v117, 4, v96
	s_waitcnt lgkmcnt(0)
	s_mul_i32 s3, s5, 0xc40
	s_mul_hi_u32 s8, s4, 0xc40
	s_mul_i32 s2, s4, 0xc40
	s_add_i32 s3, s8, s3
	s_mul_hi_u32 s9, s4, 0xfffff580
	s_delay_alu instid0(SALU_CYCLE_1)
	s_sub_i32 s8, s9, s4
	s_waitcnt vmcnt(15)
	v_mul_f32_e32 v28, v1, v67
	s_waitcnt vmcnt(14)
	v_mul_f32_e32 v30, v7, v57
	s_waitcnt vmcnt(13)
	v_dual_mul_f32 v29, v6, v57 :: v_dual_mul_f32 v32, v5, v59
	v_mul_f32_e32 v33, v0, v67
	v_mul_f32_e32 v34, v4, v59
	v_fmac_f32_e32 v30, v6, v56
	s_delay_alu instid0(VALU_DEP_4)
	v_fma_f32 v31, v7, v56, -v29
	v_fmac_f32_e32 v32, v4, v58
	v_fma_f32 v29, v1, v66, -v33
	v_fma_f32 v33, v5, v58, -v34
	s_waitcnt vmcnt(10)
	v_dual_mul_f32 v1, v8, v63 :: v_dual_mul_f32 v4, v3, v65
	v_dual_mul_f32 v5, v2, v65 :: v_dual_fmac_f32 v28, v0, v66
	v_mul_f32_e32 v7, v10, v61
	v_mul_f32_e32 v6, v11, v61
	s_delay_alu instid0(VALU_DEP_4) | instskip(NEXT) | instid1(VALU_DEP_4)
	v_fmac_f32_e32 v4, v2, v64
	v_fma_f32 v5, v3, v64, -v5
	s_waitcnt vmcnt(9)
	v_dual_mul_f32 v0, v9, v63 :: v_dual_mul_f32 v3, v12, v69
	v_fmac_f32_e32 v6, v10, v60
	v_fma_f32 v7, v11, v60, -v7
	ds_store_b64 v92, v[30:31] offset:3136
	v_mul_f32_e32 v2, v13, v69
	v_fmac_f32_e32 v0, v8, v62
	v_fma_f32 v1, v9, v62, -v1
	v_fma_f32 v3, v13, v68, -v3
	s_waitcnt vmcnt(6)
	v_mul_f32_e32 v9, v18, v75
	s_waitcnt vmcnt(5)
	v_dual_mul_f32 v8, v19, v75 :: v_dual_mul_f32 v11, v20, v73
	ds_store_2addr_b64 v92, v[28:29], v[4:5] offset1:56
	ds_store_2addr_b64 v95, v[32:33], v[6:7] offset0:192 offset1:248
	v_mul_f32_e32 v4, v15, v77
	v_dual_mul_f32 v5, v14, v77 :: v_dual_mul_f32 v6, v17, v71
	v_dual_mul_f32 v7, v16, v71 :: v_dual_mul_f32 v10, v21, v73
	s_delay_alu instid0(VALU_DEP_3) | instskip(NEXT) | instid1(VALU_DEP_3)
	v_fmac_f32_e32 v4, v14, v76
	v_fma_f32 v5, v15, v76, -v5
	s_waitcnt vmcnt(2)
	v_mul_f32_e32 v14, v25, v81
	v_mul_f32_e32 v15, v24, v81
	v_fmac_f32_e32 v6, v16, v70
	v_fma_f32 v7, v17, v70, -v7
	v_dual_mul_f32 v13, v22, v79 :: v_dual_fmac_f32 v2, v12, v68
	s_waitcnt vmcnt(0)
	v_mul_f32_e32 v17, v26, v83
	v_mul_f32_e32 v12, v23, v79
	;; [unrolled: 1-line block ×3, first 2 shown]
	v_fmac_f32_e32 v8, v18, v74
	v_fma_f32 v9, v19, v74, -v9
	v_fmac_f32_e32 v10, v20, v72
	v_fma_f32 v11, v21, v72, -v11
	;; [unrolled: 2-line block ×5, first 2 shown]
	ds_store_2addr_b64 v92, v[0:1], v[2:3] offset0:112 offset1:168
	ds_store_2addr_b64 v93, v[4:5], v[8:9] offset0:48 offset1:104
	;; [unrolled: 1-line block ×3, first 2 shown]
	ds_store_b64 v92, v[14:15] offset:2688
	ds_store_2addr_b64 v93, v[12:13], v[16:17] offset0:160 offset1:216
	s_waitcnt lgkmcnt(0)
	s_barrier
	buffer_gl0_inv
	ds_load_2addr_b64 v[1:4], v92 offset1:56
	ds_load_2addr_b64 v[5:8], v95 offset0:80 offset1:136
	ds_load_2addr_b64 v[9:12], v95 offset0:192 offset1:248
	ds_load_2addr_b64 v[13:16], v92 offset0:112 offset1:168
	ds_load_2addr_b64 v[17:20], v93 offset0:48 offset1:104
	ds_load_2addr_b64 v[21:24], v94 offset0:96 offset1:152
	ds_load_2addr_b64 v[25:28], v93 offset0:160 offset1:216
	v_lshlrev_b32_e32 v0, 1, v96
	s_waitcnt lgkmcnt(0)
	s_barrier
	buffer_gl0_inv
	v_dual_sub_f32 v29, v1, v7 :: v_dual_sub_f32 v30, v2, v8
	v_dual_sub_f32 v9, v3, v9 :: v_dual_sub_f32 v10, v4, v10
	v_dual_sub_f32 v33, v13, v11 :: v_dual_sub_f32 v34, v14, v12
	v_dual_sub_f32 v17, v15, v17 :: v_dual_sub_f32 v18, v16, v18
	v_dual_sub_f32 v37, v21, v19 :: v_dual_sub_f32 v38, v22, v20
	v_dual_sub_f32 v25, v23, v25 :: v_dual_sub_f32 v26, v24, v26
	v_dual_sub_f32 v41, v5, v27 :: v_dual_sub_f32 v42, v6, v28
	v_fma_f32 v27, v1, 2.0, -v29
	v_fma_f32 v28, v2, 2.0, -v30
	v_and_or_b32 v1, 0x7c, v0, v43
	v_fma_f32 v7, v3, 2.0, -v9
	v_fma_f32 v8, v4, 2.0, -v10
	v_lshlrev_b32_e32 v89, 3, v0
	v_fma_f32 v31, v13, 2.0, -v33
	v_fma_f32 v32, v14, 2.0, -v34
	;; [unrolled: 1-line block ×10, first 2 shown]
	ds_store_b128 v117, v[27:30]
	ds_store_b128 v117, v[7:10] offset:896
	ds_store_b128 v89, v[31:34] offset:1792
	;; [unrolled: 1-line block ×6, first 2 shown]
	s_waitcnt lgkmcnt(0)
	s_barrier
	buffer_gl0_inv
	ds_load_2addr_b64 v[5:8], v95 offset0:192 offset1:248
	v_lshlrev_b32_e32 v52, 3, v1
	ds_load_2addr_b64 v[1:4], v95 offset0:80 offset1:136
	v_lshlrev_b32_e32 v44, 3, v43
	ds_load_2addr_b64 v[9:12], v93 offset0:48 offset1:104
	v_add_nc_u32_e32 v35, 0x150, v0
	v_add_nc_u32_e32 v37, 0x230, v0
	v_and_b32_e32 v23, 3, v96
	global_load_b64 v[48:49], v44, s[10:11]
	v_add_nc_u32_e32 v24, 56, v96
	v_add_nc_u32_e32 v34, 0xe0, v0
	v_and_or_b32 v15, 0x1fc, v35, v43
	v_and_or_b32 v18, 0x2fc, v37, v43
	v_lshlrev_b32_e32 v39, 3, v23
	v_lshlrev_b32_e32 v33, 1, v24
	v_and_or_b32 v14, 0x1fc, v34, v43
	v_lshlrev_b32_e32 v113, 3, v15
	v_lshlrev_b32_e32 v115, 3, v18
	s_delay_alu instid0(VALU_DEP_4)
	v_and_or_b32 v13, 0xfc, v33, v43
	s_waitcnt vmcnt(0) lgkmcnt(0)
	v_dual_mul_f32 v46, v12, v49 :: v_dual_lshlrev_b32 v55, 3, v14
	v_mul_f32_e32 v21, v4, v49
	v_mul_f32_e32 v47, v11, v49
	;; [unrolled: 1-line block ×4, first 2 shown]
	v_fma_f32 v11, v11, v48, -v46
	v_mul_f32_e32 v40, v6, v49
	v_fma_f32 v3, v3, v48, -v21
	v_dual_mul_f32 v45, v9, v49 :: v_dual_add_nc_u32 v36, 0x1c0, v0
	v_mul_f32_e32 v44, v10, v49
	s_delay_alu instid0(VALU_DEP_4) | instskip(SKIP_1) | instid1(VALU_DEP_4)
	v_fma_f32 v5, v5, v48, -v40
	v_add_nc_u32_e32 v38, 0x2a0, v0
	v_and_or_b32 v17, 0x3fc, v36, v43
	v_fmac_f32_e32 v41, v6, v48
	v_fma_f32 v9, v9, v48, -v44
	v_fmac_f32_e32 v45, v10, v48
	v_and_or_b32 v19, 0x3fc, v38, v43
	v_mul_f32_e32 v43, v7, v49
	v_lshlrev_b32_e32 v54, 3, v13
	ds_load_2addr_b64 v[13:16], v93 offset0:160 offset1:216
	v_lshlrev_b32_e32 v114, 3, v17
	v_dual_fmac_f32 v47, v12, v48 :: v_dual_lshlrev_b32 v116, 3, v19
	ds_load_2addr_b64 v[17:20], v92 offset1:56
	ds_load_2addr_b64 v[25:28], v92 offset0:112 offset1:168
	ds_load_2addr_b64 v[29:32], v94 offset0:96 offset1:152
	v_fmac_f32_e32 v43, v8, v48
	s_waitcnt lgkmcnt(0)
	s_barrier
	buffer_gl0_inv
	v_mul_f32_e32 v87, v16, v49
	v_mul_f32_e32 v88, v15, v49
	;; [unrolled: 1-line block ×4, first 2 shown]
	v_sub_f32_e32 v3, v17, v3
	v_fma_f32 v15, v15, v48, -v87
	v_mul_f32_e32 v42, v8, v49
	v_fma_f32 v13, v13, v48, -v85
	v_fmac_f32_e32 v86, v14, v48
	s_delay_alu instid0(VALU_DEP_4) | instskip(NEXT) | instid1(VALU_DEP_4)
	v_dual_fmac_f32 v88, v16, v48 :: v_dual_sub_f32 v15, v1, v15
	v_fma_f32 v7, v7, v48, -v42
	v_sub_f32_e32 v9, v27, v9
	v_sub_f32_e32 v5, v19, v5
	;; [unrolled: 1-line block ×4, first 2 shown]
	v_dual_sub_f32 v7, v25, v7 :: v_dual_fmac_f32 v22, v4, v48
	v_dual_sub_f32 v10, v28, v45 :: v_dual_sub_f32 v11, v29, v11
	v_dual_sub_f32 v12, v30, v47 :: v_dual_sub_f32 v13, v31, v13
	s_delay_alu instid0(VALU_DEP_3)
	v_sub_f32_e32 v4, v18, v22
	v_sub_f32_e32 v14, v32, v86
	;; [unrolled: 1-line block ×3, first 2 shown]
	v_fma_f32 v17, v17, 2.0, -v3
	v_fma_f32 v19, v19, 2.0, -v5
	v_fma_f32 v18, v18, 2.0, -v4
	v_fma_f32 v20, v20, 2.0, -v6
	v_fma_f32 v21, v25, 2.0, -v7
	v_fma_f32 v22, v26, 2.0, -v8
	v_fma_f32 v25, v27, 2.0, -v9
	v_fma_f32 v26, v28, 2.0, -v10
	v_fma_f32 v27, v29, 2.0, -v11
	v_fma_f32 v28, v30, 2.0, -v12
	v_fma_f32 v29, v31, 2.0, -v13
	v_fma_f32 v30, v32, 2.0, -v14
	v_fma_f32 v1, v1, 2.0, -v15
	v_fma_f32 v2, v2, 2.0, -v16
	ds_store_2addr_b64 v52, v[17:18], v[3:4] offset1:2
	ds_store_2addr_b64 v54, v[19:20], v[5:6] offset1:2
	;; [unrolled: 1-line block ×7, first 2 shown]
	s_waitcnt lgkmcnt(0)
	s_barrier
	buffer_gl0_inv
	global_load_b64 v[85:86], v39, s[10:11] offset:16
	ds_load_2addr_b64 v[5:8], v95 offset0:192 offset1:248
	ds_load_2addr_b64 v[9:12], v93 offset0:48 offset1:104
	v_and_or_b32 v1, 0x78, v0, v23
	v_and_or_b32 v13, 0xf8, v33, v23
	;; [unrolled: 1-line block ×5, first 2 shown]
	v_lshlrev_b32_e32 v97, 3, v1
	ds_load_2addr_b64 v[1:4], v95 offset0:80 offset1:136
	v_lshlrev_b32_e32 v98, 3, v13
	v_lshlrev_b32_e32 v99, 3, v14
	v_and_or_b32 v18, 0x2f8, v37, v23
	v_and_or_b32 v19, 0x3f8, v38, v23
	v_lshlrev_b32_e32 v101, 3, v17
	v_and_b32_e32 v39, 7, v96
	s_delay_alu instid0(VALU_DEP_3) | instskip(NEXT) | instid1(VALU_DEP_2)
	v_lshlrev_b32_e32 v103, 3, v19
	v_and_or_b32 v0, 0x70, v0, v39
	s_waitcnt vmcnt(0) lgkmcnt(2)
	v_dual_mul_f32 v43, v7, v86 :: v_dual_lshlrev_b32 v100, 3, v15
	ds_load_2addr_b64 v[13:16], v93 offset0:160 offset1:216
	s_waitcnt lgkmcnt(2)
	v_mul_f32_e32 v45, v9, v86
	v_lshlrev_b32_e32 v102, 3, v18
	ds_load_2addr_b64 v[17:20], v92 offset1:56
	ds_load_2addr_b64 v[25:28], v92 offset0:112 offset1:168
	ds_load_2addr_b64 v[29:32], v94 offset0:96 offset1:152
	s_waitcnt lgkmcnt(4)
	v_mul_f32_e32 v21, v4, v86
	v_mul_f32_e32 v23, v6, v86
	v_fmac_f32_e32 v45, v10, v85
	v_mul_f32_e32 v41, v5, v86
	v_mul_f32_e32 v47, v11, v86
	;; [unrolled: 1-line block ×3, first 2 shown]
	v_fma_f32 v3, v3, v85, -v21
	v_mul_f32_e32 v42, v8, v86
	v_fma_f32 v5, v5, v85, -v23
	v_mul_f32_e32 v46, v12, v86
	v_dual_fmac_f32 v47, v12, v85 :: v_dual_lshlrev_b32 v40, 3, v39
	v_fmac_f32_e32 v41, v6, v85
	v_fmac_f32_e32 v43, v8, v85
	s_waitcnt lgkmcnt(0)
	s_barrier
	v_mul_f32_e32 v87, v14, v86
	v_mul_f32_e32 v105, v15, v86
	v_dual_mul_f32 v44, v10, v86 :: v_dual_sub_f32 v3, v17, v3
	v_fma_f32 v7, v7, v85, -v42
	v_mul_f32_e32 v104, v16, v86
	s_delay_alu instid0(VALU_DEP_4) | instskip(NEXT) | instid1(VALU_DEP_4)
	v_fmac_f32_e32 v105, v16, v85
	v_fma_f32 v9, v9, v85, -v44
	v_dual_mul_f32 v88, v13, v86 :: v_dual_sub_f32 v5, v19, v5
	v_fma_f32 v11, v11, v85, -v46
	v_fmac_f32_e32 v22, v4, v85
	v_fma_f32 v13, v13, v85, -v87
	v_sub_f32_e32 v7, v25, v7
	v_fma_f32 v15, v15, v85, -v104
	s_delay_alu instid0(VALU_DEP_4) | instskip(NEXT) | instid1(VALU_DEP_4)
	v_dual_sub_f32 v11, v29, v11 :: v_dual_sub_f32 v4, v18, v22
	v_sub_f32_e32 v13, v31, v13
	v_sub_f32_e32 v9, v27, v9
	s_delay_alu instid0(VALU_DEP_4)
	v_dual_fmac_f32 v88, v14, v85 :: v_dual_sub_f32 v15, v1, v15
	v_sub_f32_e32 v6, v20, v41
	v_sub_f32_e32 v8, v26, v43
	v_sub_f32_e32 v10, v28, v45
	v_sub_f32_e32 v12, v30, v47
	v_sub_f32_e32 v14, v32, v88
	v_sub_f32_e32 v16, v2, v105
	v_fma_f32 v17, v17, 2.0, -v3
	v_fma_f32 v18, v18, 2.0, -v4
	;; [unrolled: 1-line block ×10, first 2 shown]
	buffer_gl0_inv
	v_fma_f32 v29, v31, 2.0, -v13
	v_fma_f32 v30, v32, 2.0, -v14
	;; [unrolled: 1-line block ×4, first 2 shown]
	ds_store_2addr_b64 v97, v[17:18], v[3:4] offset1:4
	ds_store_2addr_b64 v98, v[19:20], v[5:6] offset1:4
	;; [unrolled: 1-line block ×7, first 2 shown]
	s_waitcnt lgkmcnt(0)
	s_barrier
	buffer_gl0_inv
	global_load_b64 v[87:88], v40, s[10:11] offset:48
	v_and_or_b32 v12, 0xf0, v33, v39
	v_and_or_b32 v13, 0x1f0, v34, v39
	;; [unrolled: 1-line block ×3, first 2 shown]
	ds_load_2addr_b64 v[8:11], v93 offset0:48 offset1:104
	ds_load_2addr_b64 v[4:7], v95 offset0:192 offset1:248
	v_lshlrev_b32_e32 v105, 3, v12
	v_lshlrev_b32_e32 v106, 3, v13
	;; [unrolled: 1-line block ×3, first 2 shown]
	ds_load_2addr_b64 v[12:15], v93 offset0:160 offset1:216
	v_and_or_b32 v18, 0x3f0, v38, v39
	v_and_or_b32 v16, 0x3f0, v36, v39
	;; [unrolled: 1-line block ×3, first 2 shown]
	s_delay_alu instid0(VALU_DEP_3) | instskip(NEXT) | instid1(VALU_DEP_2)
	v_lshlrev_b32_e32 v110, 3, v18
	v_lshlrev_b32_e32 v109, 3, v17
	s_waitcnt vmcnt(0) lgkmcnt(2)
	v_mul_f32_e32 v37, v9, v88
	v_mul_f32_e32 v38, v8, v88
	s_waitcnt lgkmcnt(0)
	v_mul_f32_e32 v45, v15, v88
	v_mul_f32_e32 v43, v12, v88
	v_and_b32_e32 v40, 15, v96
	v_mul_f32_e32 v42, v13, v88
	v_fmac_f32_e32 v38, v9, v87
	v_lshlrev_b32_e32 v104, 3, v0
	ds_load_2addr_b64 v[0:3], v95 offset0:80 offset1:136
	v_mul_f32_e32 v41, v10, v88
	v_dual_fmac_f32 v43, v13, v87 :: v_dual_mul_f32 v46, v14, v88
	v_fma_f32 v14, v14, v87, -v45
	v_mul_f32_e32 v33, v5, v88
	s_delay_alu instid0(VALU_DEP_4)
	v_dual_fmac_f32 v41, v11, v87 :: v_dual_lshlrev_b32 v108, 3, v16
	ds_load_2addr_b64 v[16:19], v92 offset1:56
	ds_load_2addr_b64 v[20:23], v92 offset0:112 offset1:168
	ds_load_2addr_b64 v[25:28], v94 offset0:96 offset1:152
	v_mul_f32_e32 v35, v7, v88
	v_fma_f32 v8, v8, v87, -v37
	v_fma_f32 v12, v12, v87, -v42
	v_mad_u64_u32 v[29:30], null, v40, 48, s[10:11]
	s_waitcnt lgkmcnt(0)
	s_barrier
	buffer_gl0_inv
	v_mul_f32_e32 v32, v2, v88
	v_dual_mul_f32 v31, v3, v88 :: v_dual_sub_f32 v14, v0, v14
	s_delay_alu instid0(VALU_DEP_1) | instskip(SKIP_1) | instid1(VALU_DEP_4)
	v_fma_f32 v2, v2, v87, -v31
	v_dual_sub_f32 v8, v22, v8 :: v_dual_sub_f32 v13, v28, v43
	v_fmac_f32_e32 v32, v3, v87
	v_fmac_f32_e32 v46, v15, v87
	v_sub_f32_e32 v9, v23, v38
	v_sub_f32_e32 v12, v27, v12
	v_fma_f32 v22, v22, 2.0, -v8
	v_sub_f32_e32 v3, v17, v32
	v_dual_mul_f32 v34, v4, v88 :: v_dual_sub_f32 v15, v1, v46
	v_lshrrev_b32_e32 v32, 4, v24
	v_mul_f32_e32 v39, v11, v88
	v_fma_f32 v4, v4, v87, -v33
	s_delay_alu instid0(VALU_DEP_4) | instskip(SKIP_3) | instid1(VALU_DEP_4)
	v_fmac_f32_e32 v34, v5, v87
	v_and_b32_e32 v44, 15, v24
	v_mul_u32_u24_e32 v45, 0x70, v32
	v_fma_f32 v10, v10, v87, -v39
	v_dual_sub_f32 v4, v18, v4 :: v_dual_sub_f32 v5, v19, v34
	v_sub_f32_e32 v11, v26, v41
	s_delay_alu instid0(VALU_DEP_4)
	v_or_b32_e32 v118, v45, v44
	v_mul_f32_e32 v36, v6, v88
	v_fma_f32 v6, v6, v87, -v35
	v_sub_f32_e32 v10, v25, v10
	v_fma_f32 v17, v17, 2.0, -v3
	v_fma_f32 v18, v18, 2.0, -v4
	v_fmac_f32_e32 v36, v7, v87
	v_sub_f32_e32 v2, v16, v2
	v_sub_f32_e32 v6, v20, v6
	v_fma_f32 v19, v19, 2.0, -v5
	v_fma_f32 v23, v23, 2.0, -v9
	v_sub_f32_e32 v7, v21, v36
	v_fma_f32 v16, v16, 2.0, -v2
	v_fma_f32 v20, v20, 2.0, -v6
	;; [unrolled: 1-line block ×9, first 2 shown]
	ds_store_2addr_b64 v104, v[16:17], v[2:3] offset1:8
	ds_store_2addr_b64 v105, v[18:19], v[4:5] offset1:8
	;; [unrolled: 1-line block ×7, first 2 shown]
	v_mad_u64_u32 v[0:1], null, v44, 48, s[10:11]
	s_waitcnt lgkmcnt(0)
	s_barrier
	buffer_gl0_inv
	s_clause 0x5
	global_load_b128 v[20:23], v[29:30], off offset:112
	global_load_b128 v[16:19], v[29:30], off offset:128
	;; [unrolled: 1-line block ×6, first 2 shown]
	v_lshrrev_b32_e32 v28, 4, v96
	ds_load_2addr_b64 v[24:27], v92 offset0:112 offset1:168
	v_mul_u32_u24_e32 v41, 0x70, v28
	ds_load_2addr_b64 v[28:31], v94 offset0:96 offset1:152
	ds_load_2addr_b64 v[32:35], v95 offset0:80 offset1:136
	;; [unrolled: 1-line block ×4, first 2 shown]
	v_or_b32_e32 v111, v41, v40
	ds_load_2addr_b64 v[40:43], v93 offset0:48 offset1:104
	v_lshlrev_b32_e32 v112, 3, v111
	v_lshlrev_b32_e32 v111, 3, v118
	ds_load_2addr_b64 v[118:121], v92 offset1:56
	s_waitcnt vmcnt(0) lgkmcnt(0)
	s_barrier
	buffer_gl0_inv
	v_mul_f32_e32 v128, v33, v17
	v_mul_f32_e32 v129, v32, v17
	v_dual_mul_f32 v131, v36, v19 :: v_dual_mul_f32 v124, v25, v21
	v_mul_f32_e32 v143, v38, v7
	v_mul_f32_e32 v125, v24, v21
	;; [unrolled: 1-line block ×3, first 2 shown]
	v_dual_mul_f32 v133, v40, v13 :: v_dual_mul_f32 v134, v45, v15
	s_delay_alu instid0(VALU_DEP_4)
	v_fmac_f32_e32 v143, v39, v6
	v_dual_mul_f32 v135, v44, v15 :: v_dual_mul_f32 v136, v27, v9
	v_fmac_f32_e32 v125, v25, v20
	v_dual_mul_f32 v137, v26, v9 :: v_dual_mul_f32 v126, v29, v23
	v_dual_mul_f32 v138, v31, v11 :: v_dual_fmac_f32 v127, v29, v22
	v_mul_f32_e32 v139, v30, v11
	v_dual_mul_f32 v130, v37, v19 :: v_dual_mul_f32 v141, v34, v5
	v_mul_f32_e32 v132, v41, v13
	v_dual_mul_f32 v145, v42, v1 :: v_dual_mul_f32 v146, v47, v3
	v_fmac_f32_e32 v135, v45, v14
	v_dual_mul_f32 v147, v46, v3 :: v_dual_mul_f32 v140, v35, v5
	v_dual_fmac_f32 v129, v33, v16 :: v_dual_mul_f32 v142, v39, v7
	v_dual_fmac_f32 v131, v37, v18 :: v_dual_mul_f32 v144, v43, v1
	v_fmac_f32_e32 v133, v41, v12
	v_fma_f32 v24, v24, v20, -v124
	v_fma_f32 v25, v26, v8, -v136
	v_fmac_f32_e32 v137, v27, v8
	v_fma_f32 v26, v28, v22, -v126
	v_fma_f32 v27, v30, v10, -v138
	v_fmac_f32_e32 v139, v31, v10
	v_fma_f32 v28, v32, v16, -v128
	v_fmac_f32_e32 v141, v35, v4
	v_fma_f32 v30, v36, v18, -v130
	v_fma_f32 v31, v40, v12, -v132
	;; [unrolled: 1-line block ×3, first 2 shown]
	v_fmac_f32_e32 v145, v43, v0
	v_fma_f32 v35, v46, v2, -v146
	v_fmac_f32_e32 v147, v47, v2
	v_fma_f32 v29, v34, v4, -v140
	v_add_f32_e32 v36, v24, v32
	v_fma_f32 v33, v38, v6, -v142
	v_fma_f32 v34, v42, v0, -v144
	v_dual_add_f32 v37, v125, v135 :: v_dual_sub_f32 v24, v24, v32
	v_sub_f32_e32 v32, v125, v135
	v_dual_add_f32 v38, v26, v31 :: v_dual_add_f32 v39, v127, v133
	v_dual_sub_f32 v26, v26, v31 :: v_dual_sub_f32 v31, v127, v133
	v_dual_add_f32 v40, v28, v30 :: v_dual_add_f32 v41, v129, v131
	v_dual_sub_f32 v28, v30, v28 :: v_dual_add_f32 v43, v137, v147
	v_sub_f32_e32 v30, v131, v129
	v_dual_add_f32 v42, v25, v35 :: v_dual_add_f32 v45, v139, v145
	v_sub_f32_e32 v25, v25, v35
	v_dual_sub_f32 v35, v137, v147 :: v_dual_add_f32 v44, v27, v34
	v_dual_sub_f32 v27, v27, v34 :: v_dual_add_f32 v46, v29, v33
	;; [unrolled: 1-line block ×4, first 2 shown]
	v_dual_sub_f32 v33, v143, v141 :: v_dual_sub_f32 v126, v38, v36
	v_dual_add_f32 v125, v39, v37 :: v_dual_sub_f32 v36, v36, v40
	v_add_f32_e32 v129, v30, v31
	v_dual_sub_f32 v132, v26, v24 :: v_dual_add_f32 v133, v45, v43
	v_dual_sub_f32 v127, v39, v37 :: v_dual_sub_f32 v38, v40, v38
	v_dual_sub_f32 v37, v37, v41 :: v_dual_add_f32 v128, v28, v26
	v_dual_sub_f32 v39, v41, v39 :: v_dual_sub_f32 v130, v28, v26
	v_dual_sub_f32 v131, v30, v31 :: v_dual_sub_f32 v30, v32, v30
	v_sub_f32_e32 v28, v24, v28
	v_dual_sub_f32 v31, v31, v32 :: v_dual_add_f32 v26, v44, v42
	v_dual_sub_f32 v134, v44, v42 :: v_dual_sub_f32 v135, v45, v43
	v_dual_sub_f32 v42, v42, v46 :: v_dual_sub_f32 v43, v43, v47
	;; [unrolled: 1-line block ×3, first 2 shown]
	v_add_f32_e32 v136, v29, v27
	v_dual_add_f32 v137, v33, v34 :: v_dual_sub_f32 v140, v27, v25
	v_dual_sub_f32 v138, v29, v27 :: v_dual_mul_f32 v37, 0x3f4a47b2, v37
	v_dual_sub_f32 v139, v33, v34 :: v_dual_sub_f32 v34, v34, v35
	v_dual_sub_f32 v29, v25, v29 :: v_dual_add_f32 v40, v40, v124
	v_dual_add_f32 v41, v41, v125 :: v_dual_add_f32 v124, v128, v24
	v_dual_add_f32 v32, v129, v32 :: v_dual_add_f32 v47, v47, v133
	v_dual_sub_f32 v33, v35, v33 :: v_dual_mul_f32 v36, 0x3f4a47b2, v36
	v_dual_add_f32 v35, v137, v35 :: v_dual_add_f32 v46, v46, v26
	v_dual_mul_f32 v125, 0x3d64c772, v38 :: v_dual_mul_f32 v128, 0x3d64c772, v39
	v_dual_mul_f32 v129, 0xbf08b237, v130 :: v_dual_mul_f32 v130, 0xbf08b237, v131
	v_mul_f32_e32 v131, 0xbf5ff5aa, v132
	v_dual_mul_f32 v133, 0xbf5ff5aa, v31 :: v_dual_add_f32 v136, v136, v25
	v_dual_mul_f32 v42, 0x3f4a47b2, v42 :: v_dual_mul_f32 v43, 0x3f4a47b2, v43
	v_dual_mul_f32 v141, 0x3d64c772, v45 :: v_dual_add_f32 v24, v118, v40
	v_dual_mul_f32 v138, 0xbf08b237, v138 :: v_dual_mul_f32 v139, 0xbf08b237, v139
	v_dual_mul_f32 v142, 0xbf5ff5aa, v140 :: v_dual_mul_f32 v143, 0xbf5ff5aa, v34
	v_dual_add_f32 v25, v119, v41 :: v_dual_fmamk_f32 v38, v38, 0x3d64c772, v36
	v_add_f32_e32 v27, v121, v47
	v_dual_mul_f32 v137, 0x3d64c772, v44 :: v_dual_add_f32 v26, v120, v46
	v_fma_f32 v118, 0x3f3bfb3b, v126, -v125
	v_fma_f32 v36, 0xbf3bfb3b, v126, -v36
	v_fmamk_f32 v39, v39, 0x3d64c772, v37
	v_fma_f32 v119, 0x3f3bfb3b, v127, -v128
	v_fma_f32 v37, 0xbf3bfb3b, v127, -v37
	v_dual_fmamk_f32 v120, v28, 0x3eae86e6, v129 :: v_dual_fmamk_f32 v125, v30, 0x3eae86e6, v130
	v_fmamk_f32 v128, v33, 0x3eae86e6, v139
	v_fma_f32 v126, 0x3f5ff5aa, v31, -v130
	v_dual_fmac_f32 v131, 0xbeae86e6, v28 :: v_dual_fmac_f32 v142, 0xbeae86e6, v29
	v_fmamk_f32 v28, v44, 0x3d64c772, v42
	v_fma_f32 v130, 0x3f5ff5aa, v34, -v139
	v_fmac_f32_e32 v143, 0xbeae86e6, v33
	v_fmamk_f32 v33, v41, 0xbf955555, v25
	v_fmamk_f32 v127, v29, 0x3eae86e6, v138
	v_dual_fmamk_f32 v29, v40, 0xbf955555, v24 :: v_dual_fmamk_f32 v34, v47, 0xbf955555, v27
	v_fmac_f32_e32 v133, 0xbeae86e6, v30
	v_fma_f32 v121, 0x3f5ff5aa, v132, -v129
	v_dual_fmac_f32 v125, 0x3ee1c552, v32 :: v_dual_fmac_f32 v128, 0x3ee1c552, v35
	v_fmac_f32_e32 v126, 0x3ee1c552, v32
	s_delay_alu instid0(VALU_DEP_4)
	v_dual_add_f32 v38, v38, v29 :: v_dual_fmac_f32 v133, 0x3ee1c552, v32
	v_fmamk_f32 v32, v46, 0xbf955555, v26
	v_dual_fmamk_f32 v30, v45, 0x3d64c772, v43 :: v_dual_add_f32 v39, v39, v33
	v_fma_f32 v31, 0x3f3bfb3b, v134, -v137
	v_fma_f32 v44, 0x3f3bfb3b, v135, -v141
	;; [unrolled: 1-line block ×5, first 2 shown]
	v_fmac_f32_e32 v120, 0x3ee1c552, v124
	v_dual_fmac_f32 v121, 0x3ee1c552, v124 :: v_dual_fmac_f32 v130, 0x3ee1c552, v35
	v_dual_fmac_f32 v131, 0x3ee1c552, v124 :: v_dual_add_f32 v36, v36, v29
	v_dual_fmac_f32 v142, 0x3ee1c552, v136 :: v_dual_add_f32 v37, v37, v33
	v_add_f32_e32 v40, v119, v33
	v_dual_add_f32 v124, v28, v32 :: v_dual_fmac_f32 v143, 0x3ee1c552, v35
	v_add_f32_e32 v35, v118, v29
	v_dual_fmac_f32 v127, 0x3ee1c552, v136 :: v_dual_add_f32 v28, v125, v38
	v_dual_fmac_f32 v129, 0x3ee1c552, v136 :: v_dual_add_f32 v132, v30, v34
	v_dual_add_f32 v46, v31, v32 :: v_dual_add_f32 v47, v44, v34
	v_dual_add_f32 v118, v42, v32 :: v_dual_add_f32 v119, v43, v34
	v_dual_sub_f32 v29, v39, v120 :: v_dual_add_f32 v34, v126, v35
	v_add_f32_e32 v30, v133, v36
	v_dual_sub_f32 v31, v37, v131 :: v_dual_sub_f32 v36, v36, v133
	v_dual_sub_f32 v32, v35, v126 :: v_dual_add_f32 v33, v121, v40
	v_sub_f32_e32 v38, v38, v125
	v_sub_f32_e32 v35, v40, v121
	v_dual_add_f32 v37, v131, v37 :: v_dual_add_f32 v40, v128, v124
	v_dual_add_f32 v39, v120, v39 :: v_dual_add_f32 v42, v143, v118
	v_dual_sub_f32 v41, v132, v127 :: v_dual_sub_f32 v44, v46, v130
	v_dual_sub_f32 v43, v119, v142 :: v_dual_sub_f32 v118, v118, v143
	v_dual_add_f32 v45, v129, v47 :: v_dual_add_f32 v46, v130, v46
	v_dual_sub_f32 v47, v47, v129 :: v_dual_sub_f32 v120, v124, v128
	v_add_f32_e32 v119, v142, v119
	v_add_f32_e32 v121, v127, v132
	ds_store_2addr_b64 v112, v[24:25], v[28:29] offset1:16
	ds_store_2addr_b64 v112, v[30:31], v[32:33] offset0:32 offset1:48
	ds_store_2addr_b64 v112, v[34:35], v[36:37] offset0:64 offset1:80
	ds_store_b64 v112, v[38:39] offset:768
	ds_store_2addr_b64 v111, v[26:27], v[40:41] offset1:16
	ds_store_2addr_b64 v111, v[42:43], v[44:45] offset0:32 offset1:48
	ds_store_2addr_b64 v111, v[46:47], v[118:119] offset0:64 offset1:80
	ds_store_b64 v111, v[120:121] offset:768
	s_waitcnt lgkmcnt(0)
	s_barrier
	buffer_gl0_inv
	s_clause 0x5
	global_load_b128 v[24:27], v[122:123], off offset:880
	global_load_b128 v[32:35], v[122:123], off offset:3568
	;; [unrolled: 1-line block ×6, first 2 shown]
	ds_load_2addr_b64 v[118:121], v92 offset0:112 offset1:168
	ds_load_2addr_b64 v[122:125], v94 offset0:96 offset1:152
	;; [unrolled: 1-line block ×6, first 2 shown]
	ds_load_2addr_b64 v[142:145], v92 offset1:56
	s_waitcnt vmcnt(5) lgkmcnt(5)
	v_dual_mul_f32 v147, v118, v25 :: v_dual_mul_f32 v148, v123, v27
	s_waitcnt vmcnt(4)
	v_mul_f32_e32 v150, v121, v33
	v_dual_mul_f32 v146, v119, v25 :: v_dual_mul_f32 v149, v122, v27
	s_waitcnt vmcnt(3) lgkmcnt(3)
	v_dual_mul_f32 v151, v120, v33 :: v_dual_mul_f32 v156, v131, v43
	v_dual_mul_f32 v152, v127, v41 :: v_dual_mul_f32 v155, v124, v35
	s_waitcnt vmcnt(2)
	v_dual_mul_f32 v153, v126, v41 :: v_dual_mul_f32 v160, v133, v31
	v_mul_f32_e32 v154, v125, v35
	v_dual_mul_f32 v157, v130, v43 :: v_dual_mul_f32 v158, v129, v29
	v_mul_f32_e32 v159, v128, v29
	s_waitcnt vmcnt(1) lgkmcnt(2)
	v_dual_mul_f32 v161, v132, v31 :: v_dual_mul_f32 v162, v135, v37
	v_fmac_f32_e32 v147, v119, v24
	v_fma_f32 v119, v120, v32, -v150
	v_mul_f32_e32 v120, v134, v37
	s_waitcnt lgkmcnt(1)
	v_mul_f32_e32 v150, v139, v39
	v_fma_f32 v118, v118, v24, -v146
	s_waitcnt vmcnt(0)
	v_dual_fmac_f32 v151, v121, v32 :: v_dual_mul_f32 v146, v136, v45
	v_mul_f32_e32 v121, v137, v45
	v_fma_f32 v122, v122, v26, -v148
	v_dual_fmac_f32 v149, v123, v26 :: v_dual_mul_f32 v148, v140, v47
	v_fma_f32 v123, v124, v34, -v154
	v_dual_fmac_f32 v155, v125, v34 :: v_dual_fmac_f32 v120, v135, v36
	v_mul_f32_e32 v124, v138, v39
	v_mul_f32_e32 v125, v141, v47
	v_dual_fmac_f32 v153, v127, v40 :: v_dual_fmac_f32 v148, v141, v46
	v_fma_f32 v127, v128, v28, -v158
	v_fma_f32 v128, v130, v42, -v156
	v_dual_fmac_f32 v157, v131, v42 :: v_dual_fmac_f32 v146, v137, v44
	v_fma_f32 v130, v134, v36, -v162
	v_fma_f32 v131, v138, v38, -v150
	;; [unrolled: 1-line block ×3, first 2 shown]
	v_fmac_f32_e32 v159, v129, v28
	v_fma_f32 v129, v132, v30, -v160
	v_fmac_f32_e32 v161, v133, v30
	v_fma_f32 v121, v136, v44, -v121
	v_add_f32_e32 v134, v126, v128
	v_fmac_f32_e32 v124, v139, v38
	v_fma_f32 v125, v140, v46, -v125
	v_add_f32_e32 v132, v118, v131
	v_dual_add_f32 v133, v122, v130 :: v_dual_add_f32 v136, v149, v120
	s_delay_alu instid0(VALU_DEP_4)
	v_dual_add_f32 v135, v147, v124 :: v_dual_sub_f32 v118, v118, v131
	v_dual_add_f32 v137, v153, v157 :: v_dual_sub_f32 v124, v147, v124
	v_add_f32_e32 v138, v119, v125
	v_dual_add_f32 v139, v123, v121 :: v_dual_sub_f32 v122, v122, v130
	v_add_f32_e32 v140, v127, v129
	v_dual_add_f32 v141, v151, v148 :: v_dual_sub_f32 v126, v128, v126
	v_dual_add_f32 v131, v155, v146 :: v_dual_sub_f32 v120, v149, v120
	v_dual_add_f32 v147, v159, v161 :: v_dual_add_f32 v130, v133, v132
	v_sub_f32_e32 v128, v157, v153
	v_dual_sub_f32 v121, v123, v121 :: v_dual_sub_f32 v150, v133, v132
	v_sub_f32_e32 v123, v155, v146
	v_sub_f32_e32 v127, v129, v127
	;; [unrolled: 1-line block ×3, first 2 shown]
	v_dual_sub_f32 v119, v119, v125 :: v_dual_add_f32 v146, v136, v135
	v_sub_f32_e32 v125, v151, v148
	v_dual_add_f32 v148, v139, v138 :: v_dual_sub_f32 v133, v134, v133
	v_dual_add_f32 v149, v131, v141 :: v_dual_add_f32 v152, v126, v122
	v_dual_sub_f32 v151, v136, v135 :: v_dual_sub_f32 v136, v137, v136
	v_dual_sub_f32 v153, v126, v122 :: v_dual_add_f32 v154, v128, v120
	v_dual_sub_f32 v122, v122, v118 :: v_dual_sub_f32 v155, v128, v120
	v_sub_f32_e32 v156, v120, v124
	v_dual_sub_f32 v120, v132, v134 :: v_dual_sub_f32 v157, v131, v141
	v_dual_add_f32 v158, v127, v121 :: v_dual_sub_f32 v161, v129, v123
	v_add_f32_e32 v130, v134, v130
	v_sub_f32_e32 v132, v135, v137
	v_sub_f32_e32 v126, v118, v126
	v_dual_sub_f32 v128, v124, v128 :: v_dual_sub_f32 v131, v147, v131
	v_sub_f32_e32 v135, v139, v138
	v_dual_sub_f32 v139, v140, v139 :: v_dual_sub_f32 v138, v138, v140
	;; [unrolled: 2-line block ×3, first 2 shown]
	v_add_f32_e32 v121, v129, v123
	v_dual_sub_f32 v123, v123, v125 :: v_dual_add_f32 v134, v137, v146
	v_dual_sub_f32 v127, v119, v127 :: v_dual_add_f32 v146, v152, v118
	v_dual_add_f32 v137, v140, v148 :: v_dual_add_f32 v140, v147, v149
	v_dual_mul_f32 v147, 0xbf08b237, v153 :: v_dual_add_f32 v148, v158, v119
	v_dual_mul_f32 v149, 0xbf5ff5aa, v122 :: v_dual_mul_f32 v162, 0xbf5ff5aa, v160
	v_mul_f32_e32 v152, 0xbf08b237, v155
	s_waitcnt lgkmcnt(0)
	v_dual_mul_f32 v153, 0xbf5ff5aa, v156 :: v_dual_add_f32 v118, v142, v130
	v_dual_mul_f32 v158, 0x3f4a47b2, v120 :: v_dual_add_f32 v119, v143, v134
	v_dual_sub_f32 v129, v125, v129 :: v_dual_add_f32 v124, v154, v124
	v_add_f32_e32 v125, v121, v125
	v_dual_mul_f32 v154, 0x3d64c772, v133 :: v_dual_mul_f32 v155, 0x3d64c772, v136
	v_dual_mul_f32 v132, 0x3f4a47b2, v132 :: v_dual_mul_f32 v141, 0x3f4a47b2, v141
	v_dual_mul_f32 v159, 0xbf08b237, v159 :: v_dual_add_f32 v120, v144, v137
	v_dual_add_f32 v121, v145, v140 :: v_dual_mul_f32 v142, 0xbf5ff5aa, v123
	v_dual_mul_f32 v144, 0x3d64c772, v131 :: v_dual_fmamk_f32 v133, v133, 0x3d64c772, v158
	v_fma_f32 v145, 0x3f5ff5aa, v122, -v147
	v_dual_fmac_f32 v149, 0xbeae86e6, v126 :: v_dual_fmac_f32 v162, 0xbeae86e6, v127
	v_fmamk_f32 v147, v126, 0x3eae86e6, v147
	v_fma_f32 v126, 0x3f5ff5aa, v156, -v152
	v_fmamk_f32 v152, v128, 0x3eae86e6, v152
	v_dual_fmac_f32 v153, 0xbeae86e6, v128 :: v_dual_fmac_f32 v142, 0xbeae86e6, v129
	v_fmamk_f32 v130, v130, 0xbf955555, v118
	v_mul_f32_e32 v143, 0x3d64c772, v139
	v_fma_f32 v122, 0x3f3bfb3b, v150, -v154
	v_fma_f32 v128, 0xbf3bfb3b, v150, -v158
	;; [unrolled: 1-line block ×4, first 2 shown]
	v_fmamk_f32 v132, v136, 0x3d64c772, v132
	v_dual_fmac_f32 v145, 0x3ee1c552, v146 :: v_dual_fmac_f32 v126, 0x3ee1c552, v124
	v_dual_fmac_f32 v149, 0x3ee1c552, v146 :: v_dual_fmac_f32 v152, 0x3ee1c552, v124
	v_fmac_f32_e32 v153, 0x3ee1c552, v124
	v_dual_fmamk_f32 v124, v137, 0xbf955555, v120 :: v_dual_fmamk_f32 v137, v140, 0xbf955555, v121
	v_dual_mul_f32 v161, 0xbf08b237, v161 :: v_dual_add_f32 v128, v128, v130
	v_dual_fmamk_f32 v134, v134, 0xbf955555, v119 :: v_dual_add_f32 v133, v133, v130
	v_fmamk_f32 v155, v127, 0x3eae86e6, v159
	v_fma_f32 v127, 0x3f3bfb3b, v157, -v144
	v_fma_f32 v154, 0x3f5ff5aa, v160, -v159
	;; [unrolled: 1-line block ×4, first 2 shown]
	s_delay_alu instid0(VALU_DEP_4) | instskip(SKIP_4) | instid1(VALU_DEP_4)
	v_dual_fmamk_f32 v156, v129, 0x3eae86e6, v161 :: v_dual_add_f32 v143, v127, v137
	v_mul_f32_e32 v138, 0x3f4a47b2, v138
	v_dual_fmac_f32 v147, 0x3ee1c552, v146 :: v_dual_fmac_f32 v154, 0x3ee1c552, v148
	v_add_f32_e32 v140, v151, v134
	v_fmac_f32_e32 v136, 0x3ee1c552, v125
	v_fma_f32 v129, 0xbf3bfb3b, v135, -v138
	v_fma_f32 v135, 0xbf3bfb3b, v157, -v141
	v_fmamk_f32 v131, v131, 0x3d64c772, v141
	v_add_f32_e32 v141, v123, v124
	v_dual_fmamk_f32 v138, v139, 0x3d64c772, v138 :: v_dual_add_f32 v139, v150, v134
	v_add_f32_e32 v134, v132, v134
	v_fmac_f32_e32 v162, 0x3ee1c552, v148
	v_dual_fmac_f32 v142, 0x3ee1c552, v125 :: v_dual_fmac_f32 v155, 0x3ee1c552, v148
	v_add_f32_e32 v144, v129, v124
	v_dual_add_f32 v146, v135, v137 :: v_dual_add_f32 v135, v154, v143
	v_dual_add_f32 v150, v131, v137 :: v_dual_sub_f32 v131, v134, v147
	v_dual_fmac_f32 v156, 0x3ee1c552, v125 :: v_dual_add_f32 v129, v149, v140
	v_add_f32_e32 v125, v122, v130
	v_dual_add_f32 v148, v138, v124 :: v_dual_add_f32 v123, v145, v139
	v_sub_f32_e32 v127, v140, v149
	v_sub_f32_e32 v137, v143, v154
	s_delay_alu instid0(VALU_DEP_4)
	v_sub_f32_e32 v122, v125, v126
	v_add_f32_e32 v124, v126, v125
	v_sub_f32_e32 v125, v139, v145
	v_dual_sub_f32 v139, v146, v162 :: v_dual_add_f32 v130, v152, v133
	v_dual_sub_f32 v143, v150, v155 :: v_dual_add_f32 v126, v153, v128
	v_sub_f32_e32 v128, v128, v153
	v_dual_sub_f32 v132, v133, v152 :: v_dual_add_f32 v145, v155, v150
	v_dual_add_f32 v133, v147, v134 :: v_dual_sub_f32 v134, v141, v136
	v_add_f32_e32 v136, v136, v141
	v_add_f32_e32 v138, v142, v144
	v_sub_f32_e32 v140, v144, v142
	v_dual_add_f32 v141, v162, v146 :: v_dual_add_f32 v142, v156, v148
	v_sub_f32_e32 v144, v148, v156
	ds_store_b64 v92, v[130:131] offset:896
	ds_store_b64 v92, v[126:127] offset:1792
	;; [unrolled: 1-line block ×6, first 2 shown]
	ds_store_2addr_b64 v92, v[118:119], v[120:121] offset1:56
	ds_store_b64 v92, v[142:143] offset:1344
	ds_store_b64 v92, v[138:139] offset:2240
	;; [unrolled: 1-line block ×6, first 2 shown]
	s_waitcnt lgkmcnt(0)
	s_barrier
	buffer_gl0_inv
	global_load_b64 v[50:51], v[50:51], off offset:2176
	v_add_co_u32 v118, vcc_lo, 0x1880, v53
	v_add_co_ci_u32_e32 v119, vcc_lo, 0, v90, vcc_lo
	s_clause 0x4
	global_load_b64 v[134:135], v[118:119], off offset:448
	global_load_b64 v[136:137], v[118:119], off offset:3584
	;; [unrolled: 1-line block ×5, first 2 shown]
	v_add_co_u32 v120, vcc_lo, 0x2000, v53
	v_add_co_ci_u32_e32 v121, vcc_lo, 0, v90, vcc_lo
	s_clause 0x7
	global_load_b64 v[144:145], v[120:121], off offset:2560
	global_load_b64 v[146:147], v[120:121], off offset:3008
	global_load_b64 v[148:149], v[118:119], off offset:1792
	global_load_b64 v[150:151], v[118:119], off offset:2240
	global_load_b64 v[152:153], v[118:119], off offset:3136
	global_load_b64 v[154:155], v[118:119], off offset:2688
	global_load_b64 v[156:157], v[120:121], off offset:3456
	global_load_b64 v[158:159], v[120:121], off offset:3904
	ds_load_2addr_b64 v[118:121], v92 offset1:56
	s_waitcnt vmcnt(13) lgkmcnt(0)
	v_mul_f32_e32 v53, v119, v51
	v_mul_f32_e32 v123, v118, v51
	s_delay_alu instid0(VALU_DEP_2) | instskip(NEXT) | instid1(VALU_DEP_2)
	v_fma_f32 v122, v118, v50, -v53
	v_fmac_f32_e32 v123, v119, v50
	ds_store_b64 v92, v[122:123]
	ds_load_2addr_b64 v[122:125], v95 offset0:192 offset1:248
	ds_load_2addr_b64 v[126:129], v92 offset0:112 offset1:168
	s_waitcnt vmcnt(12)
	v_mul_f32_e32 v51, v120, v135
	ds_load_2addr_b64 v[130:133], v93 offset0:48 offset1:104
	v_fmac_f32_e32 v51, v121, v134
	s_waitcnt vmcnt(11) lgkmcnt(2)
	v_dual_mul_f32 v161, v122, v137 :: v_dual_mul_f32 v50, v121, v135
	s_waitcnt vmcnt(10)
	v_dual_mul_f32 v53, v123, v137 :: v_dual_mul_f32 v90, v125, v139
	v_mul_f32_e32 v163, v124, v139
	s_delay_alu instid0(VALU_DEP_3)
	v_fmac_f32_e32 v161, v123, v136
	v_fma_f32 v50, v120, v134, -v50
	s_waitcnt vmcnt(9) lgkmcnt(1)
	v_mul_f32_e32 v134, v127, v141
	ds_load_2addr_b64 v[118:121], v94 offset0:96 offset1:152
	v_fma_f32 v160, v122, v136, -v53
	v_mul_f32_e32 v139, v126, v141
	v_fma_f32 v162, v124, v138, -v90
	v_dual_fmac_f32 v163, v125, v138 :: v_dual_add_nc_u32 v90, 0xc00, v92
	v_fma_f32 v138, v126, v140, -v134
	ds_load_2addr_b64 v[134:137], v93 offset0:160 offset1:216
	ds_load_2addr_b64 v[122:125], v95 offset0:80 offset1:136
	s_waitcnt vmcnt(8)
	v_mul_f32_e32 v53, v129, v143
	v_mul_f32_e32 v141, v128, v143
	v_fmac_f32_e32 v139, v127, v140
	s_waitcnt vmcnt(7) lgkmcnt(3)
	v_mul_f32_e32 v127, v130, v145
	v_fma_f32 v140, v128, v142, -v53
	v_mul_f32_e32 v53, v131, v145
	v_fmac_f32_e32 v141, v129, v142
	s_waitcnt vmcnt(6)
	v_mul_f32_e32 v128, v133, v147
	v_mul_f32_e32 v129, v132, v147
	s_delay_alu instid0(VALU_DEP_2)
	v_fma_f32 v128, v132, v146, -v128
	s_waitcnt vmcnt(4) lgkmcnt(2)
	v_mul_f32_e32 v132, v121, v151
	v_fma_f32 v126, v130, v144, -v53
	v_mul_f32_e32 v53, v119, v149
	v_fmac_f32_e32 v129, v133, v146
	v_mul_f32_e32 v133, v120, v151
	s_waitcnt vmcnt(0) lgkmcnt(1)
	v_dual_mul_f32 v146, v137, v159 :: v_dual_fmac_f32 v127, v131, v144
	v_mul_f32_e32 v131, v118, v149
	s_waitcnt lgkmcnt(0)
	v_mul_f32_e32 v142, v125, v153
	v_dual_mul_f32 v143, v124, v153 :: v_dual_mul_f32 v144, v123, v155
	v_fma_f32 v130, v118, v148, -v53
	v_fmac_f32_e32 v131, v119, v148
	v_mul_f32_e32 v119, v122, v155
	v_mul_f32_e32 v53, v135, v157
	v_fmac_f32_e32 v133, v121, v150
	v_mul_f32_e32 v121, v134, v157
	v_mul_f32_e32 v145, v136, v159
	v_fma_f32 v142, v124, v152, -v142
	v_fmac_f32_e32 v143, v125, v152
	v_fma_f32 v132, v120, v150, -v132
	v_fma_f32 v118, v122, v154, -v144
	v_fmac_f32_e32 v119, v123, v154
	v_fma_f32 v120, v134, v156, -v53
	v_fmac_f32_e32 v121, v135, v156
	;; [unrolled: 2-line block ×3, first 2 shown]
	ds_store_2addr_b64 v95, v[142:143], v[160:161] offset0:136 offset1:192
	ds_store_2addr_b64 v92, v[50:51], v[138:139] offset0:56 offset1:112
	ds_store_2addr_b64 v90, v[162:163], v[126:127] offset0:120 offset1:176
	ds_store_2addr_b64 v92, v[140:141], v[130:131] offset0:168 offset1:224
	ds_store_2addr_b64 v93, v[128:129], v[120:121] offset0:104 offset1:160
	ds_store_2addr_b64 v95, v[132:133], v[118:119] offset0:24 offset1:80
	ds_store_b64 v92, v[144:145] offset:5824
	s_waitcnt lgkmcnt(0)
	s_barrier
	buffer_gl0_inv
	ds_load_2addr_b64 v[118:121], v92 offset1:56
	ds_load_2addr_b64 v[122:125], v95 offset0:192 offset1:248
	ds_load_2addr_b64 v[126:129], v92 offset0:112 offset1:168
	;; [unrolled: 1-line block ×6, first 2 shown]
	s_waitcnt lgkmcnt(0)
	s_barrier
	buffer_gl0_inv
	v_dual_sub_f32 v122, v120, v122 :: v_dual_sub_f32 v123, v121, v123
	v_dual_sub_f32 v146, v126, v124 :: v_dual_sub_f32 v147, v127, v125
	v_sub_f32_e32 v130, v128, v130
	v_dual_sub_f32 v154, v118, v144 :: v_dual_sub_f32 v155, v119, v145
	v_dual_sub_f32 v131, v129, v131 :: v_dual_sub_f32 v150, v134, v132
	;; [unrolled: 1-line block ×4, first 2 shown]
	v_sub_f32_e32 v159, v143, v141
	v_fma_f32 v152, v118, 2.0, -v154
	v_fma_f32 v153, v119, 2.0, -v155
	;; [unrolled: 1-line block ×14, first 2 shown]
	ds_store_b128 v117, v[152:155]
	ds_store_b128 v117, v[120:123] offset:896
	ds_store_b128 v89, v[144:147] offset:1792
	;; [unrolled: 1-line block ×6, first 2 shown]
	s_waitcnt lgkmcnt(0)
	s_barrier
	buffer_gl0_inv
	ds_load_2addr_b64 v[117:120], v95 offset0:80 offset1:136
	ds_load_2addr_b64 v[121:124], v95 offset0:192 offset1:248
	ds_load_2addr_b64 v[125:128], v93 offset0:48 offset1:104
	ds_load_2addr_b64 v[129:132], v93 offset0:160 offset1:216
	ds_load_2addr_b64 v[133:136], v92 offset1:56
	ds_load_2addr_b64 v[137:140], v92 offset0:112 offset1:168
	ds_load_2addr_b64 v[141:144], v94 offset0:96 offset1:152
	s_waitcnt lgkmcnt(0)
	s_barrier
	buffer_gl0_inv
	v_mad_u64_u32 v[89:90], null, s6, v84, 0
	s_mul_i32 s6, s4, 0xfffff580
	v_mul_f32_e32 v50, v49, v120
	v_mul_f32_e32 v51, v49, v119
	;; [unrolled: 1-line block ×14, first 2 shown]
	v_fmac_f32_e32 v50, v48, v119
	v_fma_f32 v51, v48, v120, -v51
	v_fmac_f32_e32 v53, v48, v121
	v_fma_f32 v121, v48, v122, -v145
	;; [unrolled: 2-line block ×7, first 2 shown]
	v_dual_sub_f32 v48, v133, v50 :: v_dual_sub_f32 v49, v134, v51
	v_sub_f32_e32 v50, v135, v53
	v_sub_f32_e32 v51, v136, v121
	;; [unrolled: 1-line block ×3, first 2 shown]
	v_dual_sub_f32 v120, v138, v122 :: v_dual_sub_f32 v121, v139, v148
	v_dual_sub_f32 v122, v140, v123 :: v_dual_sub_f32 v123, v141, v150
	v_sub_f32_e32 v124, v142, v124
	v_dual_sub_f32 v125, v143, v152 :: v_dual_sub_f32 v126, v144, v126
	v_dual_sub_f32 v127, v117, v154 :: v_dual_sub_f32 v128, v118, v128
	v_fma_f32 v129, v133, 2.0, -v48
	v_fma_f32 v130, v134, 2.0, -v49
	;; [unrolled: 1-line block ×14, first 2 shown]
	ds_store_2addr_b64 v52, v[129:130], v[48:49] offset1:2
	ds_store_2addr_b64 v54, v[131:132], v[50:51] offset1:2
	;; [unrolled: 1-line block ×7, first 2 shown]
	s_waitcnt lgkmcnt(0)
	s_barrier
	buffer_gl0_inv
	ds_load_2addr_b64 v[48:51], v95 offset0:80 offset1:136
	ds_load_2addr_b64 v[52:55], v95 offset0:192 offset1:248
	;; [unrolled: 1-line block ×4, first 2 shown]
	ds_load_2addr_b64 v[121:124], v92 offset1:56
	ds_load_2addr_b64 v[125:128], v92 offset0:112 offset1:168
	ds_load_2addr_b64 v[129:132], v94 offset0:96 offset1:152
	v_mad_u64_u32 v[135:136], null, s7, v84, v[90:91]
	v_mad_u64_u32 v[133:134], null, s4, v96, 0
	s_waitcnt lgkmcnt(0)
	s_barrier
	buffer_gl0_inv
	s_mul_i32 s7, s5, 0xfffff580
	v_mul_f32_e32 v84, v86, v51
	v_mul_f32_e32 v90, v86, v53
	;; [unrolled: 1-line block ×5, first 2 shown]
	v_dual_fmac_f32 v84, v85, v50 :: v_dual_mul_f32 v137, v86, v55
	v_mul_f32_e32 v140, v86, v113
	v_mul_f32_e32 v142, v86, v115
	;; [unrolled: 1-line block ×3, first 2 shown]
	s_delay_alu instid0(VALU_DEP_4)
	v_sub_f32_e32 v50, v121, v84
	v_fmac_f32_e32 v137, v85, v54
	v_mul_f32_e32 v139, v86, v114
	v_mul_f32_e32 v145, v86, v117
	;; [unrolled: 1-line block ×3, first 2 shown]
	v_fmac_f32_e32 v90, v85, v52
	v_mul_f32_e32 v141, v86, v116
	v_mul_f32_e32 v86, v86, v119
	v_fma_f32 v51, v85, v51, -v143
	v_fma_f32 v53, v85, v53, -v136
	v_sub_f32_e32 v52, v123, v90
	v_fma_f32 v55, v85, v55, -v138
	v_sub_f32_e32 v54, v125, v137
	v_fmac_f32_e32 v139, v85, v113
	v_fma_f32 v113, v85, v114, -v140
	v_fma_f32 v114, v85, v116, -v142
	v_fmac_f32_e32 v141, v85, v115
	v_fmac_f32_e32 v146, v85, v119
	v_fma_f32 v86, v85, v120, -v86
	v_fmac_f32_e32 v144, v85, v117
	v_fma_f32 v116, v85, v118, -v145
	v_sub_f32_e32 v51, v122, v51
	v_sub_f32_e32 v53, v124, v53
	;; [unrolled: 1-line block ×3, first 2 shown]
	v_dual_sub_f32 v85, v128, v113 :: v_dual_sub_f32 v114, v130, v114
	v_dual_sub_f32 v84, v127, v139 :: v_dual_sub_f32 v113, v129, v141
	v_sub_f32_e32 v117, v48, v146
	v_dual_sub_f32 v118, v49, v86 :: v_dual_sub_f32 v115, v131, v144
	v_sub_f32_e32 v116, v132, v116
	v_fma_f32 v119, v121, 2.0, -v50
	v_fma_f32 v120, v122, 2.0, -v51
	v_fma_f32 v121, v123, 2.0, -v52
	v_fma_f32 v122, v124, 2.0, -v53
	v_fma_f32 v123, v125, 2.0, -v54
	v_fma_f32 v124, v126, 2.0, -v55
	v_fma_f32 v125, v127, 2.0, -v84
	v_fma_f32 v126, v128, 2.0, -v85
	v_fma_f32 v127, v129, 2.0, -v113
	v_fma_f32 v128, v130, 2.0, -v114
	v_fma_f32 v48, v48, 2.0, -v117
	v_fma_f32 v49, v49, 2.0, -v118
	v_fma_f32 v129, v131, 2.0, -v115
	v_fma_f32 v130, v132, 2.0, -v116
	ds_store_2addr_b64 v97, v[119:120], v[50:51] offset1:4
	ds_store_2addr_b64 v98, v[121:122], v[52:53] offset1:4
	;; [unrolled: 1-line block ×7, first 2 shown]
	s_waitcnt lgkmcnt(0)
	s_barrier
	buffer_gl0_inv
	ds_load_2addr_b64 v[48:51], v95 offset0:80 offset1:136
	v_mad_u64_u32 v[84:85], null, s5, v96, v[134:135]
	ds_load_2addr_b64 v[96:99], v93 offset0:48 offset1:104
	ds_load_2addr_b64 v[100:103], v93 offset0:160 offset1:216
	;; [unrolled: 1-line block ×3, first 2 shown]
	ds_load_2addr_b64 v[113:116], v92 offset1:56
	ds_load_2addr_b64 v[117:120], v92 offset0:112 offset1:168
	ds_load_2addr_b64 v[121:124], v94 offset0:96 offset1:152
	v_mov_b32_e32 v90, v135
	s_waitcnt lgkmcnt(0)
	v_mov_b32_e32 v134, v84
	s_barrier
	buffer_gl0_inv
	v_lshlrev_b64 v[89:90], 3, v[89:90]
	v_mul_f32_e32 v84, v88, v51
	v_mul_f32_e32 v130, v88, v99
	;; [unrolled: 1-line block ×5, first 2 shown]
	v_fmac_f32_e32 v84, v87, v50
	v_mul_f32_e32 v86, v88, v53
	v_fmac_f32_e32 v128, v87, v96
	v_dual_fmac_f32 v132, v87, v100 :: v_dual_mul_f32 v131, v88, v98
	v_mul_f32_e32 v126, v88, v55
	v_mul_f32_e32 v125, v88, v52
	v_dual_mul_f32 v127, v88, v54 :: v_dual_sub_f32 v50, v113, v84
	v_dual_mul_f32 v129, v88, v96 :: v_dual_fmac_f32 v130, v87, v98
	v_fma_f32 v51, v87, v51, -v85
	v_sub_f32_e32 v84, v119, v128
	v_fma_f32 v96, v87, v99, -v131
	v_mul_f32_e32 v136, v88, v103
	v_mul_f32_e32 v135, v88, v100
	v_dual_mul_f32 v88, v88, v102 :: v_dual_sub_f32 v51, v114, v51
	v_fmac_f32_e32 v86, v87, v52
	v_fmac_f32_e32 v126, v87, v54
	v_fma_f32 v53, v87, v53, -v125
	v_fma_f32 v55, v87, v55, -v127
	;; [unrolled: 1-line block ×3, first 2 shown]
	v_fmac_f32_e32 v136, v87, v102
	v_fma_f32 v97, v87, v101, -v135
	v_fma_f32 v88, v87, v103, -v88
	v_dual_sub_f32 v52, v115, v86 :: v_dual_sub_f32 v53, v116, v53
	v_dual_sub_f32 v54, v117, v126 :: v_dual_sub_f32 v55, v118, v55
	;; [unrolled: 1-line block ×3, first 2 shown]
	v_sub_f32_e32 v87, v122, v96
	v_dual_sub_f32 v96, v123, v132 :: v_dual_sub_f32 v97, v124, v97
	v_sub_f32_e32 v98, v48, v136
	v_sub_f32_e32 v99, v49, v88
	v_fma_f32 v100, v113, 2.0, -v50
	v_fma_f32 v101, v114, 2.0, -v51
	v_fma_f32 v102, v115, 2.0, -v52
	v_fma_f32 v103, v116, 2.0, -v53
	v_fma_f32 v113, v117, 2.0, -v54
	v_fma_f32 v114, v118, 2.0, -v55
	v_fma_f32 v115, v119, 2.0, -v84
	v_fma_f32 v116, v120, 2.0, -v85
	v_fma_f32 v117, v121, 2.0, -v86
	v_fma_f32 v118, v122, 2.0, -v87
	v_fma_f32 v119, v123, 2.0, -v96
	v_fma_f32 v120, v124, 2.0, -v97
	v_fma_f32 v48, v48, 2.0, -v98
	v_fma_f32 v49, v49, 2.0, -v99
	ds_store_2addr_b64 v104, v[100:101], v[50:51] offset1:8
	ds_store_2addr_b64 v105, v[102:103], v[52:53] offset1:8
	;; [unrolled: 1-line block ×7, first 2 shown]
	s_waitcnt lgkmcnt(0)
	s_barrier
	buffer_gl0_inv
	ds_load_2addr_b64 v[52:55], v92 offset0:112 offset1:168
	ds_load_2addr_b64 v[84:87], v94 offset0:96 offset1:152
	;; [unrolled: 1-line block ×6, first 2 shown]
	v_add_co_u32 v50, vcc_lo, s0, v89
	v_add_co_ci_u32_e32 v51, vcc_lo, s1, v90, vcc_lo
	ds_load_2addr_b64 v[117:120], v92 offset1:56
	s_waitcnt lgkmcnt(0)
	s_barrier
	buffer_gl0_inv
	v_lshlrev_b64 v[48:49], 3, v[133:134]
	s_add_i32 s0, s8, s7
	s_mov_b32 s8, 0xa72f0539
	s_mov_b32 s9, 0x3f54e5e0
	s_delay_alu instid0(VALU_DEP_1)
	v_add_co_u32 v48, vcc_lo, v50, v48
	v_mul_f32_e32 v89, v23, v85
	v_mul_f32_e32 v108, v19, v101
	v_dual_mul_f32 v88, v21, v53 :: v_dual_mul_f32 v23, v23, v84
	v_dual_mul_f32 v21, v21, v52 :: v_dual_mul_f32 v110, v15, v114
	;; [unrolled: 1-line block ×6, first 2 shown]
	v_dual_mul_f32 v13, v13, v104 :: v_dual_fmac_f32 v110, v14, v113
	v_dual_mul_f32 v15, v15, v113 :: v_dual_fmac_f32 v88, v20, v52
	v_dual_mul_f32 v9, v9, v54 :: v_dual_fmac_f32 v90, v16, v96
	v_dual_mul_f32 v11, v11, v86 :: v_dual_fmac_f32 v108, v18, v100
	v_dual_mul_f32 v123, v5, v99 :: v_dual_fmac_f32 v122, v10, v86
	v_dual_mul_f32 v5, v5, v98 :: v_dual_fmac_f32 v126, v2, v115
	v_dual_mul_f32 v125, v1, v107 :: v_dual_fmac_f32 v124, v6, v102
	v_mul_f32_e32 v1, v1, v106
	v_mul_f32_e32 v3, v3, v115
	v_fma_f32 v20, v20, v53, -v21
	v_fmac_f32_e32 v89, v22, v84
	v_fma_f32 v21, v22, v85, -v23
	v_fmac_f32_e32 v121, v8, v54
	v_fmac_f32_e32 v109, v12, v104
	v_mul_f32_e32 v7, v7, v102
	v_fma_f32 v16, v16, v97, -v17
	v_fma_f32 v17, v18, v101, -v19
	;; [unrolled: 1-line block ×6, first 2 shown]
	v_dual_add_f32 v10, v89, v109 :: v_dual_fmac_f32 v123, v4, v98
	v_fma_f32 v4, v4, v99, -v5
	v_fma_f32 v5, v6, v103, -v7
	v_dual_fmac_f32 v125, v0, v106 :: v_dual_add_f32 v14, v90, v108
	v_fma_f32 v0, v0, v107, -v1
	v_fma_f32 v1, v2, v116, -v3
	v_add_f32_e32 v2, v88, v110
	v_add_f32_e32 v3, v20, v13
	v_sub_f32_e32 v6, v88, v110
	v_sub_f32_e32 v7, v20, v13
	v_dual_add_f32 v11, v21, v12 :: v_dual_sub_f32 v18, v108, v90
	v_dual_sub_f32 v12, v21, v12 :: v_dual_add_f32 v15, v16, v17
	v_dual_sub_f32 v16, v17, v16 :: v_dual_add_f32 v19, v8, v1
	v_sub_f32_e32 v20, v121, v126
	v_dual_sub_f32 v13, v89, v109 :: v_dual_sub_f32 v52, v124, v123
	v_sub_f32_e32 v1, v8, v1
	v_add_f32_e32 v21, v9, v0
	v_sub_f32_e32 v0, v9, v0
	v_dual_sub_f32 v22, v122, v125 :: v_dual_add_f32 v17, v121, v126
	v_add_f32_e32 v8, v122, v125
	v_dual_sub_f32 v54, v10, v2 :: v_dual_add_f32 v23, v4, v5
	v_sub_f32_e32 v4, v5, v4
	v_dual_add_f32 v9, v123, v124 :: v_dual_add_f32 v84, v18, v13
	v_add_f32_e32 v5, v10, v2
	v_dual_add_f32 v53, v11, v3 :: v_dual_sub_f32 v86, v18, v13
	v_dual_sub_f32 v55, v11, v3 :: v_dual_add_f32 v88, v8, v17
	v_sub_f32_e32 v2, v2, v14
	v_dual_sub_f32 v10, v14, v10 :: v_dual_add_f32 v85, v16, v12
	v_sub_f32_e32 v96, v21, v19
	v_dual_sub_f32 v13, v13, v6 :: v_dual_add_f32 v98, v4, v0
	v_add_f32_e32 v97, v52, v22
	v_dual_sub_f32 v3, v3, v15 :: v_dual_sub_f32 v90, v8, v17
	v_dual_sub_f32 v11, v15, v11 :: v_dual_sub_f32 v8, v9, v8
	;; [unrolled: 1-line block ×3, first 2 shown]
	v_sub_f32_e32 v16, v7, v16
	v_sub_f32_e32 v12, v12, v7
	v_dual_add_f32 v89, v21, v19 :: v_dual_sub_f32 v100, v4, v0
	v_sub_f32_e32 v17, v17, v9
	v_sub_f32_e32 v21, v23, v21
	v_dual_sub_f32 v101, v0, v1 :: v_dual_mul_f32 v2, 0x3f4a47b2, v2
	v_dual_add_f32 v5, v14, v5 :: v_dual_add_f32 v6, v84, v6
	v_dual_add_f32 v14, v15, v53 :: v_dual_add_f32 v7, v85, v7
	v_mul_f32_e32 v84, 0x3f08b237, v86
	s_delay_alu instid0(VALU_DEP_3)
	v_dual_mul_f32 v15, 0x3d64c772, v10 :: v_dual_add_f32 v0, v117, v5
	v_dual_mul_f32 v86, 0x3f5ff5aa, v13 :: v_dual_sub_f32 v99, v52, v22
	v_sub_f32_e32 v52, v20, v52
	v_sub_f32_e32 v22, v22, v20
	v_add_f32_e32 v20, v97, v20
	v_add_f32_e32 v9, v9, v88
	v_dual_mul_f32 v3, 0x3f4a47b2, v3 :: v_dual_add_f32 v88, v98, v1
	v_dual_mul_f32 v53, 0x3d64c772, v11 :: v_dual_fmamk_f32 v10, v10, 0x3d64c772, v2
	v_mul_f32_e32 v98, 0x3f08b237, v99
	v_mul_f32_e32 v85, 0x3f08b237, v87
	;; [unrolled: 1-line block ×3, first 2 shown]
	v_fma_f32 v15, 0x3f3bfb3b, v54, -v15
	v_fma_f32 v54, 0xbf3bfb3b, v54, -v2
	v_fmamk_f32 v103, v18, 0xbeae86e6, v84
	v_fma_f32 v13, 0xbf5ff5aa, v13, -v84
	v_fmac_f32_e32 v86, 0x3eae86e6, v18
	v_add_f32_e32 v2, v119, v9
	v_dual_sub_f32 v19, v19, v23 :: v_dual_sub_f32 v4, v1, v4
	v_dual_add_f32 v23, v23, v89 :: v_dual_fmamk_f32 v104, v16, 0xbeae86e6, v85
	v_dual_mul_f32 v102, 0x3f5ff5aa, v101 :: v_dual_add_f32 v1, v118, v14
	v_fma_f32 v12, 0xbf5ff5aa, v12, -v85
	s_delay_alu instid0(VALU_DEP_3)
	v_dual_fmac_f32 v103, 0xbee1c552, v6 :: v_dual_fmac_f32 v104, 0xbee1c552, v7
	v_fmac_f32_e32 v13, 0xbee1c552, v6
	v_fmac_f32_e32 v86, 0xbee1c552, v6
	v_fmamk_f32 v6, v9, 0xbf955555, v2
	v_mul_f32_e32 v99, 0x3f08b237, v100
	v_fma_f32 v53, 0x3f3bfb3b, v55, -v53
	v_fma_f32 v55, 0xbf3bfb3b, v55, -v3
	v_fmac_f32_e32 v102, 0x3eae86e6, v4
	v_mul_f32_e32 v100, 0x3f5ff5aa, v22
	v_fmamk_f32 v85, v4, 0xbeae86e6, v99
	v_dual_fmamk_f32 v4, v5, 0xbf955555, v0 :: v_dual_fmamk_f32 v5, v14, 0xbf955555, v1
	v_mul_f32_e32 v17, 0x3f4a47b2, v17
	v_fmac_f32_e32 v87, 0x3eae86e6, v16
	v_fmamk_f32 v84, v52, 0xbeae86e6, v98
	s_delay_alu instid0(VALU_DEP_4) | instskip(NEXT) | instid1(VALU_DEP_4)
	v_add_f32_e32 v14, v10, v4
	v_dual_mul_f32 v89, 0x3d64c772, v8 :: v_dual_fmamk_f32 v8, v8, 0x3d64c772, v17
	v_fmac_f32_e32 v100, 0x3eae86e6, v52
	v_fmac_f32_e32 v12, 0xbee1c552, v7
	;; [unrolled: 1-line block ×3, first 2 shown]
	s_delay_alu instid0(VALU_DEP_4)
	v_fma_f32 v18, 0x3f3bfb3b, v90, -v89
	v_fmamk_f32 v11, v11, 0x3d64c772, v3
	v_add_f32_e32 v3, v120, v23
	v_fma_f32 v89, 0xbf5ff5aa, v22, -v98
	v_fmac_f32_e32 v100, 0xbee1c552, v20
	v_fma_f32 v17, 0xbf3bfb3b, v90, -v17
	v_add_f32_e32 v10, v15, v4
	v_fmamk_f32 v7, v23, 0xbf955555, v3
	v_fmac_f32_e32 v84, 0xbee1c552, v20
	v_dual_fmac_f32 v89, 0xbee1c552, v20 :: v_dual_add_f32 v52, v18, v6
	v_dual_mul_f32 v19, 0x3f4a47b2, v19 :: v_dual_add_f32 v20, v11, v5
	v_mul_f32_e32 v97, 0x3d64c772, v21
	v_dual_add_f32 v15, v54, v4 :: v_dual_add_f32 v54, v8, v6
	s_delay_alu instid0(VALU_DEP_3) | instskip(SKIP_1) | instid1(VALU_DEP_4)
	v_fmamk_f32 v16, v21, 0x3d64c772, v19
	v_fma_f32 v19, 0xbf3bfb3b, v96, -v19
	v_fma_f32 v21, 0x3f3bfb3b, v96, -v97
	;; [unrolled: 1-line block ×3, first 2 shown]
	v_add_f32_e32 v11, v53, v5
	v_add_f32_e32 v23, v55, v5
	v_dual_fmac_f32 v85, 0xbee1c552, v88 :: v_dual_add_f32 v90, v19, v7
	s_delay_alu instid0(VALU_DEP_4) | instskip(SKIP_1) | instid1(VALU_DEP_4)
	v_dual_fmac_f32 v22, 0xbee1c552, v88 :: v_dual_add_f32 v53, v21, v7
	v_dual_fmac_f32 v102, 0xbee1c552, v88 :: v_dual_add_f32 v55, v16, v7
	v_sub_f32_e32 v7, v23, v86
	v_add_f32_e32 v88, v17, v6
	v_add_f32_e32 v4, v104, v14
	v_dual_sub_f32 v5, v20, v103 :: v_dual_sub_f32 v8, v10, v12
	v_dual_add_f32 v9, v13, v11 :: v_dual_add_f32 v10, v12, v10
	v_dual_add_f32 v6, v87, v15 :: v_dual_sub_f32 v19, v90, v100
	v_dual_sub_f32 v11, v11, v13 :: v_dual_sub_f32 v14, v14, v104
	v_dual_sub_f32 v12, v15, v87 :: v_dual_add_f32 v21, v89, v53
	v_dual_add_f32 v13, v86, v23 :: v_dual_add_f32 v16, v85, v54
	v_dual_add_f32 v15, v103, v20 :: v_dual_sub_f32 v20, v52, v22
	v_sub_f32_e32 v17, v55, v84
	v_dual_add_f32 v18, v102, v88 :: v_dual_sub_f32 v23, v53, v89
	v_dual_add_f32 v22, v22, v52 :: v_dual_add_f32 v53, v100, v90
	v_sub_f32_e32 v52, v88, v102
	v_dual_sub_f32 v54, v54, v85 :: v_dual_add_f32 v55, v84, v55
	ds_store_2addr_b64 v112, v[0:1], v[4:5] offset1:16
	ds_store_2addr_b64 v112, v[6:7], v[8:9] offset0:32 offset1:48
	ds_store_2addr_b64 v112, v[10:11], v[12:13] offset0:64 offset1:80
	ds_store_b64 v112, v[14:15] offset:768
	ds_store_2addr_b64 v111, v[2:3], v[16:17] offset1:16
	ds_store_2addr_b64 v111, v[18:19], v[20:21] offset0:32 offset1:48
	ds_store_2addr_b64 v111, v[22:23], v[52:53] offset0:64 offset1:80
	ds_store_b64 v111, v[54:55] offset:768
	s_waitcnt lgkmcnt(0)
	s_barrier
	buffer_gl0_inv
	ds_load_2addr_b64 v[6:9], v92 offset0:112 offset1:168
	ds_load_2addr_b64 v[10:13], v94 offset0:96 offset1:152
	;; [unrolled: 1-line block ×6, first 2 shown]
	ds_load_2addr_b64 v[96:99], v92 offset1:56
	v_add_co_ci_u32_e32 v49, vcc_lo, v51, v49, vcc_lo
	v_add_co_u32 v0, vcc_lo, v48, s2
	s_delay_alu instid0(VALU_DEP_2) | instskip(NEXT) | instid1(VALU_DEP_2)
	v_add_co_ci_u32_e32 v1, vcc_lo, s3, v49, vcc_lo
	v_add_co_u32 v2, vcc_lo, v0, s6
	s_delay_alu instid0(VALU_DEP_2)
	v_add_co_ci_u32_e32 v3, vcc_lo, s0, v1, vcc_lo
	s_waitcnt lgkmcnt(6)
	v_mul_f32_e32 v22, v25, v7
	v_mul_f32_e32 v23, v25, v6
	s_waitcnt lgkmcnt(2)
	v_dual_mul_f32 v25, v27, v11 :: v_dual_mul_f32 v90, v37, v53
	v_dual_mul_f32 v27, v27, v10 :: v_dual_mul_f32 v88, v41, v15
	v_dual_mul_f32 v89, v43, v19 :: v_dual_fmac_f32 v22, v24, v6
	v_mul_f32_e32 v43, v43, v18
	s_waitcnt lgkmcnt(1)
	v_dual_mul_f32 v101, v33, v9 :: v_dual_mul_f32 v106, v47, v87
	v_mul_f32_e32 v33, v33, v8
	v_dual_mul_f32 v41, v41, v14 :: v_dual_mul_f32 v102, v35, v13
	v_dual_mul_f32 v37, v37, v52 :: v_dual_mul_f32 v104, v31, v21
	v_mul_f32_e32 v100, v39, v85
	v_dual_mul_f32 v39, v39, v84 :: v_dual_fmac_f32 v88, v40, v14
	v_fma_f32 v6, v24, v7, -v23
	v_fma_f32 v7, v26, v11, -v27
	;; [unrolled: 1-line block ×3, first 2 shown]
	v_dual_fmac_f32 v101, v32, v8 :: v_dual_fmac_f32 v106, v46, v86
	v_fma_f32 v8, v32, v9, -v33
	v_fmac_f32_e32 v89, v42, v18
	v_dual_mul_f32 v103, v29, v17 :: v_dual_fmac_f32 v90, v36, v52
	v_mul_f32_e32 v29, v29, v16
	v_dual_mul_f32 v105, v45, v55 :: v_dual_fmac_f32 v100, v38, v84
	v_dual_mul_f32 v47, v47, v86 :: v_dual_fmac_f32 v104, v30, v20
	v_dual_fmac_f32 v25, v26, v10 :: v_dual_sub_f32 v24, v89, v88
	v_mul_f32_e32 v31, v31, v20
	v_fma_f32 v10, v40, v15, -v41
	v_fma_f32 v14, v36, v53, -v37
	;; [unrolled: 1-line block ×3, first 2 shown]
	v_mul_f32_e32 v35, v35, v12
	v_dual_mul_f32 v45, v45, v54 :: v_dual_fmac_f32 v102, v34, v12
	v_dual_fmac_f32 v105, v44, v54 :: v_dual_add_f32 v18, v22, v100
	v_sub_f32_e32 v20, v22, v100
	v_dual_sub_f32 v22, v25, v90 :: v_dual_add_f32 v23, v10, v11
	v_dual_sub_f32 v10, v11, v10 :: v_dual_fmac_f32 v103, v28, v16
	v_dual_sub_f32 v26, v101, v106 :: v_dual_add_f32 v19, v6, v15
	v_sub_f32_e32 v6, v6, v15
	v_fma_f32 v9, v34, v13, -v35
	v_fma_f32 v13, v30, v21, -v31
	v_add_f32_e32 v21, v7, v14
	v_dual_sub_f32 v7, v7, v14 :: v_dual_sub_f32 v30, v104, v103
	v_add_f32_e32 v14, v88, v89
	v_fma_f32 v12, v28, v17, -v29
	v_fma_f32 v17, v46, v87, -v47
	;; [unrolled: 1-line block ×3, first 2 shown]
	v_add_f32_e32 v15, v25, v90
	v_dual_add_f32 v11, v101, v106 :: v_dual_sub_f32 v28, v102, v105
	s_delay_alu instid0(VALU_DEP_4) | instskip(SKIP_1) | instid1(VALU_DEP_4)
	v_add_f32_e32 v25, v8, v17
	v_sub_f32_e32 v8, v8, v17
	v_dual_sub_f32 v32, v15, v18 :: v_dual_add_f32 v17, v102, v105
	v_dual_add_f32 v34, v24, v22 :: v_dual_add_f32 v27, v9, v16
	v_dual_sub_f32 v9, v9, v16 :: v_dual_sub_f32 v36, v24, v22
	v_dual_add_f32 v16, v103, v104 :: v_dual_add_f32 v29, v12, v13
	v_dual_sub_f32 v12, v13, v12 :: v_dual_add_f32 v13, v15, v18
	v_dual_sub_f32 v22, v22, v20 :: v_dual_add_f32 v31, v21, v19
	v_sub_f32_e32 v38, v7, v6
	v_sub_f32_e32 v18, v18, v14
	v_add_f32_e32 v35, v10, v7
	v_dual_sub_f32 v37, v10, v7 :: v_dual_sub_f32 v46, v9, v8
	v_dual_sub_f32 v24, v20, v24 :: v_dual_add_f32 v7, v17, v11
	v_dual_sub_f32 v33, v21, v19 :: v_dual_add_f32 v42, v30, v28
	v_dual_sub_f32 v19, v19, v23 :: v_dual_sub_f32 v44, v30, v28
	v_sub_f32_e32 v15, v14, v15
	v_dual_sub_f32 v21, v23, v21 :: v_dual_sub_f32 v40, v17, v11
	v_sub_f32_e32 v11, v11, v16
	v_sub_f32_e32 v17, v16, v17
	v_dual_add_f32 v43, v12, v9 :: v_dual_mul_f32 v44, 0x3f08b237, v44
	v_dual_sub_f32 v45, v12, v9 :: v_dual_mul_f32 v52, 0x3f5ff5aa, v46
	v_sub_f32_e32 v30, v26, v30
	v_dual_add_f32 v13, v14, v13 :: v_dual_add_f32 v16, v16, v7
	v_mul_f32_e32 v9, 0x3f4a47b2, v18
	v_dual_sub_f32 v10, v6, v10 :: v_dual_add_f32 v39, v27, v25
	v_dual_add_f32 v20, v34, v20 :: v_dual_sub_f32 v41, v27, v25
	v_dual_mul_f32 v18, 0x3f4a47b2, v19 :: v_dual_sub_f32 v25, v25, v29
	v_add_f32_e32 v14, v23, v31
	v_sub_f32_e32 v12, v8, v12
	v_dual_sub_f32 v28, v28, v26 :: v_dual_mul_f32 v19, 0x3d64c772, v15
	v_dual_mul_f32 v34, 0x3f08b237, v36 :: v_dual_add_f32 v23, v35, v6
	s_waitcnt lgkmcnt(0)
	v_dual_add_f32 v6, v96, v13 :: v_dual_fmamk_f32 v15, v15, 0x3d64c772, v9
	v_mul_f32_e32 v35, 0x3f08b237, v37
	v_mul_f32_e32 v36, 0x3f5ff5aa, v22
	v_fma_f32 v22, 0xbf5ff5aa, v22, -v34
	v_dual_sub_f32 v27, v29, v27 :: v_dual_add_f32 v26, v42, v26
	s_delay_alu instid0(VALU_DEP_4) | instskip(NEXT) | instid1(VALU_DEP_4)
	v_fmamk_f32 v53, v10, 0xbeae86e6, v35
	v_dual_add_f32 v29, v29, v39 :: v_dual_fmac_f32 v36, 0x3eae86e6, v24
	v_mul_f32_e32 v42, 0x3d64c772, v17
	s_delay_alu instid0(VALU_DEP_3)
	v_dual_fmac_f32 v22, 0xbee1c552, v20 :: v_dual_fmac_f32 v53, 0xbee1c552, v23
	v_mul_f32_e32 v45, 0x3f08b237, v45
	v_add_f32_e32 v39, v43, v8
	v_add_f32_e32 v8, v98, v16
	v_fma_f32 v19, 0x3f3bfb3b, v32, -v19
	v_fma_f32 v32, 0xbf3bfb3b, v32, -v9
	v_mul_f32_e32 v37, 0x3f5ff5aa, v38
	v_mul_f32_e32 v11, 0x3f4a47b2, v11
	;; [unrolled: 1-line block ×3, first 2 shown]
	v_dual_add_f32 v7, v97, v14 :: v_dual_fmac_f32 v52, 0x3eae86e6, v12
	s_delay_alu instid0(VALU_DEP_4)
	v_fmac_f32_e32 v37, 0x3eae86e6, v10
	v_fmac_f32_e32 v36, 0xbee1c552, v20
	v_fmamk_f32 v21, v21, 0x3d64c772, v18
	v_fma_f32 v18, 0xbf3bfb3b, v33, -v18
	v_add_f32_e32 v9, v99, v29
	v_fmac_f32_e32 v37, 0xbee1c552, v23
	v_mul_f32_e32 v47, 0x3f5ff5aa, v28
	v_fmamk_f32 v10, v17, 0x3d64c772, v11
	v_fma_f32 v31, 0x3f3bfb3b, v33, -v31
	v_fmamk_f32 v33, v24, 0xbeae86e6, v34
	v_fma_f32 v34, 0xbf5ff5aa, v38, -v35
	v_fma_f32 v24, 0x3f3bfb3b, v40, -v42
	;; [unrolled: 1-line block ×3, first 2 shown]
	v_dual_fmamk_f32 v35, v30, 0xbeae86e6, v44 :: v_dual_fmamk_f32 v38, v12, 0xbeae86e6, v45
	v_fma_f32 v40, 0xbf5ff5aa, v28, -v44
	v_fmac_f32_e32 v47, 0x3eae86e6, v30
	v_dual_fmamk_f32 v12, v13, 0xbf955555, v6 :: v_dual_fmamk_f32 v13, v14, 0xbf955555, v7
	v_fmamk_f32 v14, v16, 0xbf955555, v8
	v_mul_f32_e32 v25, 0x3f4a47b2, v25
	s_delay_alu instid0(VALU_DEP_3)
	v_dual_fmamk_f32 v16, v29, 0xbf955555, v9 :: v_dual_add_f32 v19, v19, v12
	v_dual_fmac_f32 v35, 0xbee1c552, v26 :: v_dual_fmac_f32 v38, 0xbee1c552, v39
	v_fmac_f32_e32 v40, 0xbee1c552, v26
	v_dual_fmac_f32 v47, 0xbee1c552, v26 :: v_dual_fmac_f32 v52, 0xbee1c552, v39
	v_add_f32_e32 v26, v32, v12
	v_add_f32_e32 v32, v10, v14
	v_dual_add_f32 v30, v24, v14 :: v_dual_fmamk_f32 v17, v27, 0x3d64c772, v25
	v_fma_f32 v25, 0xbf3bfb3b, v41, -v25
	v_mul_f32_e32 v43, 0x3d64c772, v27
	v_dual_fmac_f32 v34, 0xbee1c552, v23 :: v_dual_add_f32 v23, v31, v13
	v_mad_u64_u32 v[4:5], null, 0x1c0, s4, v[2:3]
	s_delay_alu instid0(VALU_DEP_4) | instskip(NEXT) | instid1(VALU_DEP_4)
	v_add_f32_e32 v42, v25, v16
	v_fma_f32 v27, 0x3f3bfb3b, v41, -v43
	v_add_f32_e32 v41, v11, v14
	v_add_f32_e32 v29, v18, v13
	v_dual_sub_f32 v18, v26, v37 :: v_dual_fmac_f32 v33, 0xbee1c552, v20
	v_add_f32_e32 v20, v15, v12
	v_dual_sub_f32 v14, v19, v34 :: v_dual_add_f32 v21, v21, v13
	v_dual_add_f32 v31, v27, v16 :: v_dual_add_f32 v12, v37, v26
	s_delay_alu instid0(VALU_DEP_3) | instskip(SKIP_1) | instid1(VALU_DEP_4)
	v_add_f32_e32 v10, v53, v20
	v_fma_f32 v28, 0xbf5ff5aa, v46, -v45
	v_sub_f32_e32 v11, v21, v33
	v_dual_add_f32 v15, v22, v23 :: v_dual_sub_f32 v20, v20, v53
	s_delay_alu instid0(VALU_DEP_3) | instskip(SKIP_2) | instid1(VALU_DEP_3)
	v_dual_add_f32 v21, v33, v21 :: v_dual_fmac_f32 v28, 0xbee1c552, v39
	v_dual_add_f32 v39, v17, v16 :: v_dual_add_f32 v16, v34, v19
	v_dual_sub_f32 v17, v23, v22 :: v_dual_add_f32 v22, v38, v32
	v_sub_f32_e32 v26, v30, v28
	v_add_f32_e32 v28, v28, v30
	v_sub_f32_e32 v30, v41, v52
	v_sub_f32_e32 v13, v29, v36
	v_add_f32_e32 v19, v36, v29
	v_dual_add_f32 v24, v52, v41 :: v_dual_sub_f32 v25, v42, v47
	v_add_f32_e32 v27, v40, v31
	v_sub_f32_e32 v29, v31, v40
	v_add_f32_e32 v31, v47, v42
	v_dual_sub_f32 v32, v32, v38 :: v_dual_sub_f32 v23, v39, v35
	v_add_f32_e32 v33, v35, v39
	ds_store_b64 v92, v[10:11] offset:896
	ds_store_b64 v92, v[12:13] offset:1792
	;; [unrolled: 1-line block ×6, first 2 shown]
	ds_store_2addr_b64 v92, v[6:7], v[8:9] offset1:56
	ds_store_b64 v92, v[22:23] offset:1344
	ds_store_b64 v92, v[24:25] offset:2240
	;; [unrolled: 1-line block ×6, first 2 shown]
	s_waitcnt lgkmcnt(0)
	s_barrier
	buffer_gl0_inv
	ds_load_2addr_b64 v[6:9], v92 offset1:56
	ds_load_2addr_b64 v[10:13], v95 offset0:80 offset1:136
	ds_load_2addr_b64 v[14:17], v95 offset0:192 offset1:248
	ds_load_2addr_b64 v[18:21], v92 offset0:112 offset1:168
	ds_load_2addr_b64 v[22:25], v93 offset0:48 offset1:104
	ds_load_2addr_b64 v[26:29], v94 offset0:96 offset1:152
	v_mad_u64_u32 v[34:35], null, s4, v91, 0
	s_waitcnt lgkmcnt(5)
	v_mad_u64_u32 v[30:31], null, 0x1c0, s5, v[5:6]
	v_mul_f32_e32 v36, v67, v7
	s_waitcnt lgkmcnt(2)
	v_dual_mul_f32 v52, v69, v21 :: v_dual_mul_f32 v37, v67, v6
	v_mul_f32_e32 v38, v57, v13
	s_waitcnt lgkmcnt(1)
	v_mul_f32_e32 v54, v77, v23
	v_mul_f32_e32 v39, v57, v12
	v_dual_mov_b32 v5, v30 :: v_dual_fmac_f32 v52, v68, v20
	ds_load_2addr_b64 v[30:33], v93 offset0:160 offset1:216
	v_mul_f32_e32 v40, v65, v9
	v_dual_mul_f32 v41, v65, v8 :: v_dual_mul_f32 v42, v59, v15
	v_mul_f32_e32 v43, v59, v14
	v_mul_f32_e32 v44, v63, v19
	v_dual_mul_f32 v45, v63, v18 :: v_dual_mul_f32 v46, v61, v17
	v_dual_mul_f32 v47, v61, v16 :: v_dual_fmac_f32 v36, v66, v6
	v_fma_f32 v37, v66, v7, -v37
	v_mul_f32_e32 v53, v69, v20
	v_mul_f32_e32 v61, v75, v25
	;; [unrolled: 1-line block ×3, first 2 shown]
	s_waitcnt lgkmcnt(1)
	v_mul_f32_e32 v65, v73, v29
	v_mul_f32_e32 v67, v73, v28
	;; [unrolled: 1-line block ×3, first 2 shown]
	v_dual_mul_f32 v75, v81, v10 :: v_dual_fmac_f32 v38, v56, v12
	v_fmac_f32_e32 v54, v76, v22
	v_fma_f32 v12, v56, v13, -v39
	v_dual_mul_f32 v55, v77, v22 :: v_dual_fmac_f32 v40, v64, v8
	v_fma_f32 v39, v64, v9, -v41
	v_mul_f32_e32 v57, v71, v27
	v_mul_f32_e32 v59, v71, v26
	v_fmac_f32_e32 v42, v58, v14
	v_fma_f32 v41, v58, v15, -v43
	v_fmac_f32_e32 v44, v62, v18
	v_fma_f32 v43, v62, v19, -v45
	;; [unrolled: 2-line block ×3, first 2 shown]
	v_cvt_f64_f32_e32 v[6:7], v36
	v_cvt_f64_f32_e32 v[8:9], v37
	s_waitcnt lgkmcnt(0)
	v_mul_f32_e32 v69, v79, v31
	v_mul_f32_e32 v71, v79, v30
	;; [unrolled: 1-line block ×4, first 2 shown]
	v_fma_f32 v47, v68, v21, -v53
	v_fmac_f32_e32 v73, v80, v10
	v_fma_f32 v62, v80, v11, -v75
	v_cvt_f64_f32_e32 v[10:11], v38
	v_cvt_f64_f32_e32 v[12:13], v12
	v_fma_f32 v53, v76, v23, -v55
	v_cvt_f64_f32_e32 v[14:15], v40
	v_cvt_f64_f32_e32 v[16:17], v39
	v_fmac_f32_e32 v57, v70, v26
	v_fma_f32 v55, v70, v27, -v59
	v_cvt_f64_f32_e32 v[18:19], v42
	v_cvt_f64_f32_e32 v[20:21], v41
	v_fmac_f32_e32 v61, v74, v24
	;; [unrolled: 4-line block ×4, first 2 shown]
	v_fma_f32 v59, v78, v31, -v71
	v_fmac_f32_e32 v77, v82, v32
	v_fma_f32 v66, v82, v33, -v79
	v_cvt_f64_f32_e32 v[30:31], v52
	v_cvt_f64_f32_e32 v[32:33], v47
	;; [unrolled: 1-line block ×16, first 2 shown]
	v_mul_f64 v[6:7], v[6:7], s[8:9]
	v_mul_f64 v[8:9], v[8:9], s[8:9]
	;; [unrolled: 1-line block ×6, first 2 shown]
	v_add_co_u32 v68, vcc_lo, v4, s2
	v_mul_f64 v[18:19], v[18:19], s[8:9]
	v_mul_f64 v[20:21], v[20:21], s[8:9]
	v_add_co_ci_u32_e32 v69, vcc_lo, s3, v5, vcc_lo
	v_mul_f64 v[22:23], v[22:23], s[8:9]
	v_mul_f64 v[24:25], v[24:25], s[8:9]
	v_add_co_u32 v70, vcc_lo, v68, s6
	v_mul_f64 v[26:27], v[26:27], s[8:9]
	v_mul_f64 v[28:29], v[28:29], s[8:9]
	v_add_co_ci_u32_e32 v71, vcc_lo, s0, v69, vcc_lo
	s_delay_alu instid0(VALU_DEP_4)
	v_add_co_u32 v72, vcc_lo, v70, s2
	v_mul_f64 v[30:31], v[30:31], s[8:9]
	v_mul_f64 v[32:33], v[32:33], s[8:9]
	;; [unrolled: 1-line block ×16, first 2 shown]
	v_cvt_f32_f64_e32 v6, v[6:7]
	v_cvt_f32_f64_e32 v7, v[8:9]
	;; [unrolled: 1-line block ×6, first 2 shown]
	v_add_co_ci_u32_e32 v73, vcc_lo, s3, v71, vcc_lo
	v_cvt_f32_f64_e32 v12, v[18:19]
	v_cvt_f32_f64_e32 v13, v[20:21]
	;; [unrolled: 1-line block ×12, first 2 shown]
	v_mad_u64_u32 v[74:75], null, s5, v91, v[35:36]
	v_cvt_f32_f64_e32 v24, v[44:45]
	v_cvt_f32_f64_e32 v25, v[46:47]
	v_add_co_u32 v75, vcc_lo, v72, s6
	v_cvt_f32_f64_e32 v26, v[52:53]
	v_cvt_f32_f64_e32 v27, v[54:55]
	;; [unrolled: 1-line block ×4, first 2 shown]
	v_add_co_ci_u32_e32 v76, vcc_lo, s0, v73, vcc_lo
	v_cvt_f32_f64_e32 v30, v[60:61]
	v_cvt_f32_f64_e32 v31, v[62:63]
	;; [unrolled: 1-line block ×4, first 2 shown]
	v_add_co_u32 v36, vcc_lo, v75, s2
	v_add_co_ci_u32_e32 v37, vcc_lo, s3, v76, vcc_lo
	v_mov_b32_e32 v35, v74
	s_delay_alu instid0(VALU_DEP_3) | instskip(NEXT) | instid1(VALU_DEP_3)
	v_add_co_u32 v38, vcc_lo, v36, s6
	v_add_co_ci_u32_e32 v39, vcc_lo, s0, v37, vcc_lo
	s_delay_alu instid0(VALU_DEP_3) | instskip(NEXT) | instid1(VALU_DEP_3)
	v_lshlrev_b64 v[34:35], 3, v[34:35]
	v_add_co_u32 v40, vcc_lo, v38, s2
	s_delay_alu instid0(VALU_DEP_3) | instskip(NEXT) | instid1(VALU_DEP_2)
	v_add_co_ci_u32_e32 v41, vcc_lo, s3, v39, vcc_lo
	v_add_co_u32 v42, vcc_lo, v40, s6
	s_delay_alu instid0(VALU_DEP_2) | instskip(SKIP_2) | instid1(VALU_DEP_4)
	v_add_co_ci_u32_e32 v43, vcc_lo, s0, v41, vcc_lo
	v_add_co_u32 v34, vcc_lo, v50, v34
	v_add_co_ci_u32_e32 v35, vcc_lo, v51, v35, vcc_lo
	v_add_co_u32 v44, vcc_lo, v42, s2
	s_delay_alu instid0(VALU_DEP_4)
	v_add_co_ci_u32_e32 v45, vcc_lo, s3, v43, vcc_lo
	s_clause 0x5
	global_store_b64 v[48:49], v[6:7], off
	global_store_b64 v[0:1], v[8:9], off
	;; [unrolled: 1-line block ×14, first 2 shown]
.LBB0_2:
	s_nop 0
	s_sendmsg sendmsg(MSG_DEALLOC_VGPRS)
	s_endpgm
	.section	.rodata,"a",@progbits
	.p2align	6, 0x0
	.amdhsa_kernel bluestein_single_fwd_len784_dim1_sp_op_CI_CI
		.amdhsa_group_segment_fixed_size 6272
		.amdhsa_private_segment_fixed_size 0
		.amdhsa_kernarg_size 104
		.amdhsa_user_sgpr_count 15
		.amdhsa_user_sgpr_dispatch_ptr 0
		.amdhsa_user_sgpr_queue_ptr 0
		.amdhsa_user_sgpr_kernarg_segment_ptr 1
		.amdhsa_user_sgpr_dispatch_id 0
		.amdhsa_user_sgpr_private_segment_size 0
		.amdhsa_wavefront_size32 1
		.amdhsa_uses_dynamic_stack 0
		.amdhsa_enable_private_segment 0
		.amdhsa_system_sgpr_workgroup_id_x 1
		.amdhsa_system_sgpr_workgroup_id_y 0
		.amdhsa_system_sgpr_workgroup_id_z 0
		.amdhsa_system_sgpr_workgroup_info 0
		.amdhsa_system_vgpr_workitem_id 0
		.amdhsa_next_free_vgpr 164
		.amdhsa_next_free_sgpr 20
		.amdhsa_reserve_vcc 1
		.amdhsa_float_round_mode_32 0
		.amdhsa_float_round_mode_16_64 0
		.amdhsa_float_denorm_mode_32 3
		.amdhsa_float_denorm_mode_16_64 3
		.amdhsa_dx10_clamp 1
		.amdhsa_ieee_mode 1
		.amdhsa_fp16_overflow 0
		.amdhsa_workgroup_processor_mode 1
		.amdhsa_memory_ordered 1
		.amdhsa_forward_progress 0
		.amdhsa_shared_vgpr_count 0
		.amdhsa_exception_fp_ieee_invalid_op 0
		.amdhsa_exception_fp_denorm_src 0
		.amdhsa_exception_fp_ieee_div_zero 0
		.amdhsa_exception_fp_ieee_overflow 0
		.amdhsa_exception_fp_ieee_underflow 0
		.amdhsa_exception_fp_ieee_inexact 0
		.amdhsa_exception_int_div_zero 0
	.end_amdhsa_kernel
	.text
.Lfunc_end0:
	.size	bluestein_single_fwd_len784_dim1_sp_op_CI_CI, .Lfunc_end0-bluestein_single_fwd_len784_dim1_sp_op_CI_CI
                                        ; -- End function
	.section	.AMDGPU.csdata,"",@progbits
; Kernel info:
; codeLenInByte = 12500
; NumSgprs: 22
; NumVgprs: 164
; ScratchSize: 0
; MemoryBound: 0
; FloatMode: 240
; IeeeMode: 1
; LDSByteSize: 6272 bytes/workgroup (compile time only)
; SGPRBlocks: 2
; VGPRBlocks: 20
; NumSGPRsForWavesPerEU: 22
; NumVGPRsForWavesPerEU: 164
; Occupancy: 9
; WaveLimiterHint : 1
; COMPUTE_PGM_RSRC2:SCRATCH_EN: 0
; COMPUTE_PGM_RSRC2:USER_SGPR: 15
; COMPUTE_PGM_RSRC2:TRAP_HANDLER: 0
; COMPUTE_PGM_RSRC2:TGID_X_EN: 1
; COMPUTE_PGM_RSRC2:TGID_Y_EN: 0
; COMPUTE_PGM_RSRC2:TGID_Z_EN: 0
; COMPUTE_PGM_RSRC2:TIDIG_COMP_CNT: 0
	.text
	.p2alignl 7, 3214868480
	.fill 96, 4, 3214868480
	.type	__hip_cuid_de3262337f2b5f89,@object ; @__hip_cuid_de3262337f2b5f89
	.section	.bss,"aw",@nobits
	.globl	__hip_cuid_de3262337f2b5f89
__hip_cuid_de3262337f2b5f89:
	.byte	0                               ; 0x0
	.size	__hip_cuid_de3262337f2b5f89, 1

	.ident	"AMD clang version 19.0.0git (https://github.com/RadeonOpenCompute/llvm-project roc-6.4.0 25133 c7fe45cf4b819c5991fe208aaa96edf142730f1d)"
	.section	".note.GNU-stack","",@progbits
	.addrsig
	.addrsig_sym __hip_cuid_de3262337f2b5f89
	.amdgpu_metadata
---
amdhsa.kernels:
  - .args:
      - .actual_access:  read_only
        .address_space:  global
        .offset:         0
        .size:           8
        .value_kind:     global_buffer
      - .actual_access:  read_only
        .address_space:  global
        .offset:         8
        .size:           8
        .value_kind:     global_buffer
      - .actual_access:  read_only
        .address_space:  global
        .offset:         16
        .size:           8
        .value_kind:     global_buffer
      - .actual_access:  read_only
        .address_space:  global
        .offset:         24
        .size:           8
        .value_kind:     global_buffer
      - .actual_access:  read_only
        .address_space:  global
        .offset:         32
        .size:           8
        .value_kind:     global_buffer
      - .offset:         40
        .size:           8
        .value_kind:     by_value
      - .address_space:  global
        .offset:         48
        .size:           8
        .value_kind:     global_buffer
      - .address_space:  global
        .offset:         56
        .size:           8
        .value_kind:     global_buffer
      - .address_space:  global
        .offset:         64
        .size:           8
        .value_kind:     global_buffer
      - .address_space:  global
        .offset:         72
        .size:           8
        .value_kind:     global_buffer
      - .offset:         80
        .size:           4
        .value_kind:     by_value
      - .address_space:  global
        .offset:         88
        .size:           8
        .value_kind:     global_buffer
      - .address_space:  global
        .offset:         96
        .size:           8
        .value_kind:     global_buffer
    .group_segment_fixed_size: 6272
    .kernarg_segment_align: 8
    .kernarg_segment_size: 104
    .language:       OpenCL C
    .language_version:
      - 2
      - 0
    .max_flat_workgroup_size: 56
    .name:           bluestein_single_fwd_len784_dim1_sp_op_CI_CI
    .private_segment_fixed_size: 0
    .sgpr_count:     22
    .sgpr_spill_count: 0
    .symbol:         bluestein_single_fwd_len784_dim1_sp_op_CI_CI.kd
    .uniform_work_group_size: 1
    .uses_dynamic_stack: false
    .vgpr_count:     164
    .vgpr_spill_count: 0
    .wavefront_size: 32
    .workgroup_processor_mode: 1
amdhsa.target:   amdgcn-amd-amdhsa--gfx1100
amdhsa.version:
  - 1
  - 2
...

	.end_amdgpu_metadata
